;; amdgpu-corpus repo=ROCm/rocFFT kind=compiled arch=gfx1030 opt=O3
	.text
	.amdgcn_target "amdgcn-amd-amdhsa--gfx1030"
	.amdhsa_code_object_version 6
	.protected	fft_rtc_back_len169_factors_13_13_wgs_156_tpt_13_dp_op_CI_CI_sbcc_twdbase6_3step_dirReg ; -- Begin function fft_rtc_back_len169_factors_13_13_wgs_156_tpt_13_dp_op_CI_CI_sbcc_twdbase6_3step_dirReg
	.globl	fft_rtc_back_len169_factors_13_13_wgs_156_tpt_13_dp_op_CI_CI_sbcc_twdbase6_3step_dirReg
	.p2align	8
	.type	fft_rtc_back_len169_factors_13_13_wgs_156_tpt_13_dp_op_CI_CI_sbcc_twdbase6_3step_dirReg,@function
fft_rtc_back_len169_factors_13_13_wgs_156_tpt_13_dp_op_CI_CI_sbcc_twdbase6_3step_dirReg: ; @fft_rtc_back_len169_factors_13_13_wgs_156_tpt_13_dp_op_CI_CI_sbcc_twdbase6_3step_dirReg
; %bb.0:
	s_clause 0x3
	s_load_dwordx2 s[24:25], s[4:5], 0x0
	s_load_dwordx8 s[8:15], s[4:5], 0x8
	s_load_dwordx4 s[16:19], s[4:5], 0x60
	s_load_dwordx2 s[26:27], s[4:5], 0x28
	s_mov_b64 s[62:63], s[2:3]
	s_mov_b64 s[60:61], s[0:1]
	v_mov_b32_e32 v206, v0
	s_add_u32 s60, s60, s7
	s_addc_u32 s61, s61, 0
	s_mov_b32 s1, exec_lo
	v_cmpx_gt_u32_e32 0xc0, v206
	s_cbranch_execz .LBB0_3
; %bb.1:
	v_lshlrev_b32_e32 v0, 4, v206
	v_add_co_u32 v1, s0, 0xffffff64, v206
	v_add_co_ci_u32_e64 v2, null, 0, -1, s0
	s_waitcnt lgkmcnt(0)
	v_add_co_u32 v3, s0, s8, v0
	v_add_co_ci_u32_e64 v4, null, s9, 0, s0
	v_add3_u32 v5, v0, 0, 0x7ec0
	s_mov_b32 s2, 0
	.p2align	6
.LBB0_2:                                ; =>This Inner Loop Header: Depth=1
	global_load_dwordx4 v[6:9], v[3:4], off
	v_add_co_u32 v1, vcc_lo, 0x9c, v1
	v_add_co_ci_u32_e32 v2, vcc_lo, 0, v2, vcc_lo
	v_add_co_u32 v3, vcc_lo, 0x9c0, v3
	v_add_co_ci_u32_e32 v4, vcc_lo, 0, v4, vcc_lo
	v_cmp_lt_u64_e64 s0, 35, v[1:2]
	s_or_b32 s2, s0, s2
	s_waitcnt vmcnt(0)
	ds_write2_b64 v5, v[6:7], v[8:9] offset1:1
	v_add_nc_u32_e32 v5, 0x9c0, v5
	s_andn2_b32 exec_lo, exec_lo, s2
	s_cbranch_execnz .LBB0_2
.LBB0_3:
	s_or_b32 exec_lo, exec_lo, s1
	s_waitcnt lgkmcnt(0)
	s_load_dwordx2 s[28:29], s[12:13], 0x8
	s_waitcnt lgkmcnt(0)
	s_add_u32 s0, s28, -1
	s_addc_u32 s1, s29, -1
	s_add_u32 s2, 0, 0x55540000
	s_addc_u32 s3, 0, 0x55
	s_mul_hi_u32 s5, s2, -12
	s_add_i32 s3, s3, 0x15555500
	s_sub_i32 s5, s5, s2
	s_mul_i32 s8, s3, -12
	s_mul_i32 s4, s2, -12
	s_add_i32 s5, s5, s8
	s_mul_hi_u32 s7, s2, s4
	s_mul_i32 s20, s2, s5
	s_mul_hi_u32 s8, s2, s5
	s_mul_hi_u32 s9, s3, s4
	s_mul_i32 s4, s3, s4
	s_add_u32 s7, s7, s20
	s_addc_u32 s8, 0, s8
	s_mul_hi_u32 s21, s3, s5
	s_add_u32 s4, s7, s4
	s_mul_i32 s5, s3, s5
	s_addc_u32 s4, s8, s9
	s_addc_u32 s7, s21, 0
	s_add_u32 s4, s4, s5
	v_add_co_u32 v0, s2, s2, s4
	s_addc_u32 s4, 0, s7
	s_cmp_lg_u32 s2, 0
	s_addc_u32 s2, s3, s4
	v_readfirstlane_b32 s3, v0
	s_mul_i32 s5, s0, s2
	s_mul_hi_u32 s4, s0, s2
	s_mul_hi_u32 s7, s1, s2
	s_mul_i32 s2, s1, s2
	s_mul_hi_u32 s8, s0, s3
	s_mul_hi_u32 s9, s1, s3
	s_mul_i32 s3, s1, s3
	s_add_u32 s5, s8, s5
	s_addc_u32 s4, 0, s4
	s_add_u32 s3, s5, s3
	s_addc_u32 s3, s4, s9
	s_addc_u32 s4, s7, 0
	s_add_u32 s2, s3, s2
	s_addc_u32 s3, 0, s4
	s_mul_i32 s5, s2, 12
	s_add_u32 s4, s2, 1
	v_sub_co_u32 v0, s0, s0, s5
	s_mul_hi_u32 s5, s2, 12
	s_addc_u32 s7, s3, 0
	s_mul_i32 s8, s3, 12
	v_sub_co_u32 v1, s9, v0, 12
	s_add_u32 s20, s2, 2
	s_addc_u32 s21, s3, 0
	s_add_i32 s5, s5, s8
	s_cmp_lg_u32 s0, 0
	v_readfirstlane_b32 s0, v1
	s_subb_u32 s1, s1, s5
	s_cmp_lg_u32 s9, 0
	s_mov_b64 s[8:9], 0
	s_subb_u32 s5, s1, 0
	s_cmp_gt_u32 s0, 11
	s_cselect_b32 s0, -1, 0
	s_cmp_eq_u32 s5, 0
	v_readfirstlane_b32 s5, v0
	s_cselect_b32 s0, s0, -1
	s_cmp_lg_u32 s0, 0
	s_cselect_b32 s0, s20, s4
	s_cselect_b32 s4, s21, s7
	s_cmp_gt_u32 s5, 11
	s_mov_b32 s7, 0
	s_cselect_b32 s5, -1, 0
	s_cmp_eq_u32 s1, 0
	s_cselect_b32 s1, s5, -1
	s_cmp_lg_u32 s1, 0
	s_cselect_b32 s0, s0, s2
	s_cselect_b32 s1, s4, s3
	s_add_u32 s34, s0, 1
	s_addc_u32 s35, s1, 0
	v_cmp_lt_u64_e64 s0, s[6:7], s[34:35]
	s_and_b32 vcc_lo, exec_lo, s0
	s_cbranch_vccnz .LBB0_5
; %bb.4:
	v_cvt_f32_u32_e32 v0, s34
	s_sub_i32 s1, 0, s34
	s_mov_b32 s9, s7
	v_rcp_iflag_f32_e32 v0, v0
	v_mul_f32_e32 v0, 0x4f7ffffe, v0
	v_cvt_u32_f32_e32 v0, v0
	v_readfirstlane_b32 s0, v0
	s_mul_i32 s1, s1, s0
	s_mul_hi_u32 s1, s0, s1
	s_add_i32 s0, s0, s1
	s_mul_hi_u32 s0, s6, s0
	s_mul_i32 s1, s0, s34
	s_add_i32 s2, s0, 1
	s_sub_i32 s1, s6, s1
	s_sub_i32 s3, s1, s34
	s_cmp_ge_u32 s1, s34
	s_cselect_b32 s0, s2, s0
	s_cselect_b32 s1, s3, s1
	s_add_i32 s2, s0, 1
	s_cmp_ge_u32 s1, s34
	s_cselect_b32 s8, s2, s0
.LBB0_5:
	s_load_dwordx4 s[20:23], s[14:15], 0x0
	s_load_dwordx4 s[0:3], s[26:27], 0x0
	s_mul_i32 s4, s8, s35
	s_mul_hi_u32 s5, s8, s34
	s_mul_i32 s30, s8, s34
	s_add_i32 s5, s5, s4
	s_sub_u32 s48, s6, s30
	s_subb_u32 s4, 0, s5
	v_cmp_lt_u64_e64 s31, s[10:11], 3
	s_mul_hi_u32 s33, s48, 12
	s_mul_i32 s4, s4, 12
	s_mul_i32 s48, s48, 12
	s_add_i32 s33, s33, s4
	s_and_b32 vcc_lo, exec_lo, s31
	s_waitcnt lgkmcnt(0)
	s_mul_i32 s4, s22, s33
	s_mul_hi_u32 s5, s22, s48
	s_mul_i32 s36, s2, s33
	s_mul_hi_u32 s37, s2, s48
	s_mul_i32 s31, s23, s48
	s_mul_i32 s38, s3, s48
	s_add_i32 s4, s5, s4
	s_add_i32 s5, s37, s36
	s_mul_i32 s30, s22, s48
	s_add_i32 s31, s4, s31
	s_add_i32 s5, s5, s38
	s_mul_i32 s4, s2, s48
	s_cbranch_vccnz .LBB0_15
; %bb.6:
	s_add_u32 s36, s26, 16
	s_addc_u32 s37, s27, 0
	s_add_u32 s38, s14, 16
	s_addc_u32 s39, s15, 0
	;; [unrolled: 2-line block ×3, first 2 shown]
	s_mov_b64 s[40:41], 2
	s_mov_b32 s42, 0
.LBB0_7:                                ; =>This Inner Loop Header: Depth=1
	s_load_dwordx2 s[44:45], s[12:13], 0x0
	s_waitcnt lgkmcnt(0)
	s_or_b64 s[46:47], s[8:9], s[44:45]
	s_mov_b32 s43, s47
                                        ; implicit-def: $sgpr46_sgpr47
	s_cmp_lg_u64 s[42:43], 0
	s_mov_b32 s43, -1
	s_cbranch_scc0 .LBB0_9
; %bb.8:                                ;   in Loop: Header=BB0_7 Depth=1
	v_cvt_f32_u32_e32 v0, s44
	v_cvt_f32_u32_e32 v1, s45
	s_sub_u32 s47, 0, s44
	s_subb_u32 s49, 0, s45
	v_fmac_f32_e32 v0, 0x4f800000, v1
	v_rcp_f32_e32 v0, v0
	v_mul_f32_e32 v0, 0x5f7ffffc, v0
	v_mul_f32_e32 v1, 0x2f800000, v0
	v_trunc_f32_e32 v1, v1
	v_fmac_f32_e32 v0, 0xcf800000, v1
	v_cvt_u32_f32_e32 v1, v1
	v_cvt_u32_f32_e32 v0, v0
	v_readfirstlane_b32 s43, v1
	v_readfirstlane_b32 s46, v0
	s_mul_i32 s50, s47, s43
	s_mul_hi_u32 s52, s47, s46
	s_mul_i32 s51, s49, s46
	s_add_i32 s50, s52, s50
	s_mul_i32 s53, s47, s46
	s_add_i32 s50, s50, s51
	s_mul_hi_u32 s52, s46, s53
	s_mul_hi_u32 s54, s43, s53
	s_mul_i32 s51, s43, s53
	s_mul_hi_u32 s53, s46, s50
	s_mul_i32 s46, s46, s50
	s_mul_hi_u32 s55, s43, s50
	s_add_u32 s46, s52, s46
	s_addc_u32 s52, 0, s53
	s_add_u32 s46, s46, s51
	s_mul_i32 s50, s43, s50
	s_addc_u32 s46, s52, s54
	s_addc_u32 s51, s55, 0
	s_add_u32 s46, s46, s50
	s_addc_u32 s50, 0, s51
	v_add_co_u32 v0, s46, v0, s46
	s_cmp_lg_u32 s46, 0
	s_addc_u32 s43, s43, s50
	v_readfirstlane_b32 s46, v0
	s_mul_i32 s50, s47, s43
	s_mul_hi_u32 s51, s47, s46
	s_mul_i32 s49, s49, s46
	s_add_i32 s50, s51, s50
	s_mul_i32 s47, s47, s46
	s_add_i32 s50, s50, s49
	s_mul_hi_u32 s51, s43, s47
	s_mul_i32 s52, s43, s47
	s_mul_hi_u32 s47, s46, s47
	s_mul_hi_u32 s53, s46, s50
	s_mul_i32 s46, s46, s50
	s_mul_hi_u32 s49, s43, s50
	s_add_u32 s46, s47, s46
	s_addc_u32 s47, 0, s53
	s_add_u32 s46, s46, s52
	s_mul_i32 s50, s43, s50
	s_addc_u32 s46, s47, s51
	s_addc_u32 s47, s49, 0
	s_add_u32 s46, s46, s50
	s_addc_u32 s47, 0, s47
	v_add_co_u32 v0, s46, v0, s46
	s_cmp_lg_u32 s46, 0
	s_addc_u32 s43, s43, s47
	v_readfirstlane_b32 s46, v0
	s_mul_i32 s49, s8, s43
	s_mul_hi_u32 s47, s8, s43
	s_mul_hi_u32 s50, s9, s43
	s_mul_i32 s43, s9, s43
	s_mul_hi_u32 s51, s8, s46
	s_mul_hi_u32 s52, s9, s46
	s_mul_i32 s46, s9, s46
	s_add_u32 s49, s51, s49
	s_addc_u32 s47, 0, s47
	s_add_u32 s46, s49, s46
	s_addc_u32 s46, s47, s52
	s_addc_u32 s47, s50, 0
	s_add_u32 s46, s46, s43
	s_addc_u32 s47, 0, s47
	s_mul_hi_u32 s43, s44, s46
	s_mul_i32 s50, s44, s47
	s_mul_i32 s51, s44, s46
	s_add_i32 s43, s43, s50
	v_sub_co_u32 v0, s50, s8, s51
	s_mul_i32 s49, s45, s46
	s_add_i32 s43, s43, s49
	v_sub_co_u32 v1, s51, v0, s44
	s_sub_i32 s49, s9, s43
	s_cmp_lg_u32 s50, 0
	s_subb_u32 s49, s49, s45
	s_cmp_lg_u32 s51, 0
	v_readfirstlane_b32 s51, v1
	s_subb_u32 s49, s49, 0
	s_cmp_ge_u32 s49, s45
	s_cselect_b32 s52, -1, 0
	s_cmp_ge_u32 s51, s44
	s_cselect_b32 s51, -1, 0
	s_cmp_eq_u32 s49, s45
	s_cselect_b32 s49, s51, s52
	s_add_u32 s51, s46, 1
	s_addc_u32 s52, s47, 0
	s_add_u32 s53, s46, 2
	s_addc_u32 s54, s47, 0
	s_cmp_lg_u32 s49, 0
	s_cselect_b32 s49, s53, s51
	s_cselect_b32 s51, s54, s52
	s_cmp_lg_u32 s50, 0
	v_readfirstlane_b32 s50, v0
	s_subb_u32 s43, s9, s43
	s_cmp_ge_u32 s43, s45
	s_cselect_b32 s52, -1, 0
	s_cmp_ge_u32 s50, s44
	s_cselect_b32 s50, -1, 0
	s_cmp_eq_u32 s43, s45
	s_cselect_b32 s43, s50, s52
	s_cmp_lg_u32 s43, 0
	s_mov_b32 s43, 0
	s_cselect_b32 s47, s51, s47
	s_cselect_b32 s46, s49, s46
.LBB0_9:                                ;   in Loop: Header=BB0_7 Depth=1
	s_andn2_b32 vcc_lo, exec_lo, s43
	s_cbranch_vccnz .LBB0_11
; %bb.10:                               ;   in Loop: Header=BB0_7 Depth=1
	v_cvt_f32_u32_e32 v0, s44
	s_sub_i32 s46, 0, s44
	v_rcp_iflag_f32_e32 v0, v0
	v_mul_f32_e32 v0, 0x4f7ffffe, v0
	v_cvt_u32_f32_e32 v0, v0
	v_readfirstlane_b32 s43, v0
	s_mul_i32 s46, s46, s43
	s_mul_hi_u32 s46, s43, s46
	s_add_i32 s43, s43, s46
	s_mul_hi_u32 s43, s8, s43
	s_mul_i32 s46, s43, s44
	s_add_i32 s47, s43, 1
	s_sub_i32 s46, s8, s46
	s_sub_i32 s49, s46, s44
	s_cmp_ge_u32 s46, s44
	s_cselect_b32 s43, s47, s43
	s_cselect_b32 s46, s49, s46
	s_add_i32 s47, s43, 1
	s_cmp_ge_u32 s46, s44
	s_cselect_b32 s46, s47, s43
	s_mov_b32 s47, s42
.LBB0_11:                               ;   in Loop: Header=BB0_7 Depth=1
	s_load_dwordx2 s[50:51], s[38:39], 0x0
	s_load_dwordx2 s[52:53], s[36:37], 0x0
	s_mul_i32 s35, s44, s35
	s_mul_hi_u32 s43, s44, s34
	s_mul_i32 s49, s45, s34
	s_mul_i32 s45, s46, s45
	s_mul_hi_u32 s54, s46, s44
	s_mul_i32 s55, s47, s44
	s_add_i32 s35, s43, s35
	s_add_i32 s43, s54, s45
	s_mul_i32 s56, s46, s44
	s_add_i32 s35, s35, s49
	s_add_i32 s43, s43, s55
	s_sub_u32 s8, s8, s56
	s_subb_u32 s9, s9, s43
	s_mul_i32 s34, s44, s34
	s_waitcnt lgkmcnt(0)
	s_mul_i32 s43, s50, s9
	s_mul_hi_u32 s45, s50, s8
	s_mul_i32 s49, s51, s8
	s_add_i32 s43, s45, s43
	s_mul_i32 s50, s50, s8
	s_mul_i32 s9, s52, s9
	s_mul_hi_u32 s45, s52, s8
	s_add_i32 s43, s43, s49
	s_add_u32 s30, s50, s30
	s_addc_u32 s31, s43, s31
	s_add_i32 s9, s45, s9
	s_mul_i32 s43, s53, s8
	s_mul_i32 s8, s52, s8
	s_add_i32 s9, s9, s43
	s_add_u32 s4, s8, s4
	s_addc_u32 s5, s9, s5
	s_add_u32 s40, s40, 1
	s_addc_u32 s41, s41, 0
	s_add_u32 s36, s36, 8
	v_cmp_ge_u64_e64 s8, s[40:41], s[10:11]
	s_addc_u32 s37, s37, 0
	s_add_u32 s38, s38, 8
	s_addc_u32 s39, s39, 0
	s_add_u32 s12, s12, 8
	s_addc_u32 s13, s13, 0
	s_and_b32 vcc_lo, exec_lo, s8
	s_cbranch_vccnz .LBB0_13
; %bb.12:                               ;   in Loop: Header=BB0_7 Depth=1
	s_mov_b64 s[8:9], s[46:47]
	s_branch .LBB0_7
.LBB0_13:
	v_cmp_lt_u64_e64 s7, s[6:7], s[34:35]
	s_mov_b64 s[8:9], 0
	s_and_b32 vcc_lo, exec_lo, s7
	s_cbranch_vccnz .LBB0_15
; %bb.14:
	v_cvt_f32_u32_e32 v0, s34
	s_sub_i32 s8, 0, s34
	v_rcp_iflag_f32_e32 v0, v0
	v_mul_f32_e32 v0, 0x4f7ffffe, v0
	v_cvt_u32_f32_e32 v0, v0
	v_readfirstlane_b32 s7, v0
	s_mul_i32 s8, s8, s7
	s_mul_hi_u32 s8, s7, s8
	s_add_i32 s7, s7, s8
	s_mul_hi_u32 s7, s6, s7
	s_mul_i32 s8, s7, s34
	s_sub_i32 s6, s6, s8
	s_add_i32 s8, s7, 1
	s_sub_i32 s9, s6, s34
	s_cmp_ge_u32 s6, s34
	s_cselect_b32 s7, s8, s7
	s_cselect_b32 s6, s9, s6
	s_add_i32 s8, s7, 1
	s_cmp_ge_u32 s6, s34
	s_cselect_b32 s8, s8, s7
.LBB0_15:
	v_mul_hi_u32 v90, 0x15555556, v206
	s_lshl_b64 s[6:7], s[10:11], 3
                                        ; implicit-def: $vgpr7_vgpr8
                                        ; implicit-def: $vgpr11_vgpr12
                                        ; implicit-def: $vgpr15_vgpr16
                                        ; implicit-def: $vgpr19_vgpr20
                                        ; implicit-def: $vgpr27_vgpr28
                                        ; implicit-def: $vgpr23_vgpr24
                                        ; implicit-def: $vgpr35_vgpr36
                                        ; implicit-def: $vgpr31_vgpr32
                                        ; implicit-def: $vgpr39_vgpr40
                                        ; implicit-def: $vgpr47_vgpr48
                                        ; implicit-def: $vgpr51_vgpr52
                                        ; implicit-def: $vgpr43_vgpr44
                                        ; implicit-def: $vgpr3_vgpr4
	s_add_u32 s46, s26, s6
	s_addc_u32 s47, s27, s7
	s_add_u32 s10, s48, 12
	s_addc_u32 s11, s33, 0
	v_mul_u32_u24_e32 v0, 12, v90
	v_sub_nc_u32_e32 v255, v206, v0
	v_add_co_u32 v53, s9, s48, v255
	v_add_co_ci_u32_e64 v54, null, s33, 0, s9
	v_cmp_le_u64_e64 s9, s[10:11], s[28:29]
	v_cmp_gt_u64_e32 vcc_lo, s[28:29], v[53:54]
	s_or_b32 s9, s9, vcc_lo
	s_and_saveexec_b32 s10, s9
	s_cbranch_execz .LBB0_17
; %bb.16:
	s_add_u32 s6, s14, s6
	s_addc_u32 s7, s15, s7
	v_mad_u64_u32 v[1:2], null, s22, v255, 0
	s_load_dwordx2 s[6:7], s[6:7], 0x0
	v_mad_u64_u32 v[3:4], null, s20, v90, 0
	v_add_nc_u32_e32 v0, 13, v90
	v_add_nc_u32_e32 v11, 26, v90
	;; [unrolled: 1-line block ×5, first 2 shown]
	v_mad_u64_u32 v[5:6], null, s20, v0, 0
	v_mad_u64_u32 v[7:8], null, s23, v255, v[2:3]
	v_mad_u64_u32 v[18:19], null, s20, v21, 0
	v_add_nc_u32_e32 v22, 0x82, v90
	v_add_nc_u32_e32 v27, 0x8f, v90
	v_mad_u64_u32 v[8:9], null, s21, v90, v[4:5]
	v_mad_u64_u32 v[9:10], null, s21, v0, v[6:7]
	s_waitcnt lgkmcnt(0)
	s_mul_i32 s7, s7, s8
	s_mul_hi_u32 s11, s6, s8
	v_mov_b32_e32 v2, v7
	s_mul_i32 s6, s6, s8
	s_add_i32 s7, s11, s7
	v_mov_b32_e32 v4, v8
	s_lshl_b64 s[6:7], s[6:7], 4
	v_lshlrev_b64 v[1:2], 4, v[1:2]
	s_add_u32 s11, s16, s6
	v_mad_u64_u32 v[7:8], null, s20, v11, 0
	s_addc_u32 s12, s17, s7
	s_lshl_b64 s[6:7], s[30:31], 4
	v_mov_b32_e32 v6, v9
	s_add_u32 s6, s11, s6
	s_addc_u32 s7, s12, s7
	v_add_co_u32 v0, vcc_lo, s6, v1
	v_add_co_ci_u32_e32 v20, vcc_lo, s7, v2, vcc_lo
	v_lshlrev_b64 v[1:2], 4, v[3:4]
	v_mad_u64_u32 v[9:10], null, s20, v14, 0
	v_lshlrev_b64 v[4:5], 4, v[5:6]
	v_mov_b32_e32 v3, v8
	v_add_nc_u32_e32 v28, 0x9c, v90
	v_add_co_u32 v1, vcc_lo, v0, v1
	v_add_co_ci_u32_e32 v2, vcc_lo, v20, v2, vcc_lo
	v_mad_u64_u32 v[11:12], null, s21, v11, v[3:4]
	v_mov_b32_e32 v3, v10
	v_add_co_u32 v12, vcc_lo, v0, v4
	v_add_co_ci_u32_e32 v13, vcc_lo, v20, v5, vcc_lo
	v_mad_u64_u32 v[5:6], null, s21, v14, v[3:4]
	v_mov_b32_e32 v8, v11
	v_mad_u64_u32 v[14:15], null, s20, v16, 0
	s_clause 0x1
	global_load_dwordx4 v[1:4], v[1:2], off
	global_load_dwordx4 v[41:44], v[12:13], off
	v_add_nc_u32_e32 v13, 0x41, v90
	v_lshlrev_b64 v[6:7], 4, v[7:8]
	v_mov_b32_e32 v10, v5
	v_mad_u64_u32 v[25:26], null, s20, v28, 0
	v_mov_b32_e32 v5, v15
	v_mad_u64_u32 v[11:12], null, s20, v13, 0
	v_add_co_u32 v6, vcc_lo, v0, v6
	v_lshlrev_b64 v[8:9], 4, v[9:10]
	v_add_nc_u32_e32 v10, 0x4e, v90
	v_add_co_ci_u32_e32 v7, vcc_lo, v20, v7, vcc_lo
	v_mad_u64_u32 v[15:16], null, s21, v16, v[5:6]
	v_mad_u64_u32 v[16:17], null, s20, v10, 0
	v_add_co_u32 v8, vcc_lo, v0, v8
	v_mov_b32_e32 v5, v12
	v_add_co_ci_u32_e32 v9, vcc_lo, v20, v9, vcc_lo
	s_clause 0x1
	global_load_dwordx4 v[49:52], v[6:7], off
	global_load_dwordx4 v[45:48], v[8:9], off
	v_mad_u64_u32 v[12:13], null, s21, v13, v[5:6]
	v_lshlrev_b64 v[6:7], 4, v[14:15]
	v_mov_b32_e32 v5, v17
	v_mad_u64_u32 v[8:9], null, s21, v10, v[5:6]
	v_mov_b32_e32 v5, v19
	v_add_co_u32 v6, vcc_lo, v0, v6
	v_lshlrev_b64 v[9:10], 4, v[11:12]
	v_add_co_ci_u32_e32 v7, vcc_lo, v20, v7, vcc_lo
	v_mad_u64_u32 v[11:12], null, s21, v21, v[5:6]
	v_add_nc_u32_e32 v21, 0x68, v90
	v_mov_b32_e32 v17, v8
	v_add_co_u32 v8, vcc_lo, v0, v9
	v_add_co_ci_u32_e32 v9, vcc_lo, v20, v10, vcc_lo
	v_mad_u64_u32 v[14:15], null, s20, v21, 0
	v_lshlrev_b64 v[12:13], 4, v[16:17]
	v_mov_b32_e32 v19, v11
	s_clause 0x1
	global_load_dwordx4 v[37:40], v[6:7], off
	global_load_dwordx4 v[29:32], v[8:9], off
	v_mad_u64_u32 v[16:17], null, s20, v22, 0
	v_add_co_u32 v5, vcc_lo, v0, v12
	v_lshlrev_b64 v[8:9], 4, v[18:19]
	v_mov_b32_e32 v7, v15
	v_add_co_ci_u32_e32 v6, vcc_lo, v20, v13, vcc_lo
	v_add_nc_u32_e32 v13, 0x75, v90
	v_mad_u64_u32 v[18:19], null, s20, v27, 0
	v_mad_u64_u32 v[10:11], null, s21, v21, v[7:8]
	;; [unrolled: 1-line block ×3, first 2 shown]
	v_add_co_u32 v7, vcc_lo, v0, v8
	v_add_co_ci_u32_e32 v8, vcc_lo, v20, v9, vcc_lo
	v_mov_b32_e32 v15, v10
	v_mov_b32_e32 v10, v17
	;; [unrolled: 1-line block ×3, first 2 shown]
	v_mad_u64_u32 v[12:13], null, s21, v13, v[9:10]
	v_mad_u64_u32 v[9:10], null, s21, v22, v[10:11]
	s_clause 0x1
	global_load_dwordx4 v[33:36], v[5:6], off
	global_load_dwordx4 v[21:24], v[7:8], off
	v_lshlrev_b64 v[6:7], 4, v[14:15]
	v_mov_b32_e32 v5, v19
	v_mov_b32_e32 v17, v9
	v_mad_u64_u32 v[8:9], null, s21, v27, v[5:6]
	v_mov_b32_e32 v5, v26
	v_add_co_u32 v6, vcc_lo, v0, v6
	v_lshlrev_b64 v[9:10], 4, v[11:12]
	v_add_co_ci_u32_e32 v7, vcc_lo, v20, v7, vcc_lo
	v_mad_u64_u32 v[11:12], null, s21, v28, v[5:6]
	v_lshlrev_b64 v[12:13], 4, v[16:17]
	v_mov_b32_e32 v19, v8
	v_add_co_u32 v8, vcc_lo, v0, v9
	v_add_co_ci_u32_e32 v9, vcc_lo, v20, v10, vcc_lo
	v_mov_b32_e32 v26, v11
	v_lshlrev_b64 v[14:15], 4, v[18:19]
	v_add_co_u32 v10, vcc_lo, v0, v12
	v_add_co_ci_u32_e32 v11, vcc_lo, v20, v13, vcc_lo
	v_lshlrev_b64 v[12:13], 4, v[25:26]
	v_add_co_u32 v54, vcc_lo, v0, v14
	v_add_co_ci_u32_e32 v55, vcc_lo, v20, v15, vcc_lo
	v_add_co_u32 v56, vcc_lo, v0, v12
	v_add_co_ci_u32_e32 v57, vcc_lo, v20, v13, vcc_lo
	s_clause 0x4
	global_load_dwordx4 v[25:28], v[6:7], off
	global_load_dwordx4 v[17:20], v[8:9], off
	;; [unrolled: 1-line block ×5, first 2 shown]
.LBB0_17:
	s_or_b32 exec_lo, exec_lo, s10
	s_waitcnt vmcnt(11)
	v_add_f64 v[91:92], v[41:42], v[1:2]
	v_add_f64 v[93:94], v[43:44], v[3:4]
	s_waitcnt vmcnt(2)
	v_add_f64 v[74:75], v[13:14], v[45:46]
	v_add_f64 v[76:77], v[15:16], v[47:48]
	v_add_f64 v[86:87], v[45:46], -v[13:14]
	v_add_f64 v[88:89], v[47:48], -v[15:16]
	s_waitcnt vmcnt(0)
	v_add_f64 v[95:96], v[43:44], -v[7:8]
	v_add_f64 v[97:98], v[5:6], v[41:42]
	v_add_f64 v[41:42], v[41:42], -v[5:6]
	s_mov_b32 s40, 0x4267c47c
	v_add_f64 v[66:67], v[17:18], v[37:38]
	v_add_f64 v[68:69], v[19:20], v[39:40]
	v_add_f64 v[78:79], v[37:38], -v[17:18]
	v_add_f64 v[80:81], v[39:40], -v[19:20]
	s_mov_b32 s41, 0xbfddbe06
	v_add_f64 v[82:83], v[9:10], v[49:50]
	v_add_f64 v[84:85], v[11:12], v[51:52]
	;; [unrolled: 1-line block ×3, first 2 shown]
	s_mov_b32 s30, 0x42a4c3d2
	s_mov_b32 s6, 0xe00740e9
	;; [unrolled: 1-line block ×4, first 2 shown]
	v_add_f64 v[91:92], v[49:50], v[91:92]
	v_add_f64 v[93:94], v[51:52], v[93:94]
	v_add_f64 v[49:50], v[49:50], -v[9:10]
	v_add_f64 v[51:52], v[51:52], -v[11:12]
	s_mov_b32 s34, 0x66966769
	s_mov_b32 s22, 0x2ef20147
	;; [unrolled: 1-line block ×4, first 2 shown]
	v_mul_f64 v[102:103], v[41:42], s[40:41]
	s_mov_b32 s20, 0x1ea71119
	v_add_f64 v[54:55], v[21:22], v[33:34]
	v_add_f64 v[56:57], v[23:24], v[35:36]
	v_add_f64 v[62:63], v[33:34], -v[21:22]
	v_add_f64 v[64:65], v[35:36], -v[23:24]
	s_mov_b32 s35, 0xbfefc445
	s_mov_b32 s23, 0xbfedeba7
	;; [unrolled: 1-line block ×5, first 2 shown]
	v_mul_f64 v[99:100], v[95:96], s[34:35]
	v_mul_f64 v[104:105], v[41:42], s[30:31]
	;; [unrolled: 1-line block ×3, first 2 shown]
	v_add_f64 v[45:46], v[45:46], v[91:92]
	v_add_f64 v[47:48], v[47:48], v[93:94]
	v_mul_f64 v[91:92], v[95:96], s[40:41]
	v_mul_f64 v[112:113], v[51:52], s[30:31]
	;; [unrolled: 1-line block ×6, first 2 shown]
	v_fma_f64 v[168:169], v[43:44], s[6:7], -v[102:103]
	v_mul_f64 v[41:42], v[41:42], s[28:29]
	v_mul_f64 v[116:117], v[88:89], s[34:35]
	v_mul_f64 v[118:119], v[86:87], s[34:35]
	s_mov_b32 s16, 0xebaa3ed8
	s_mov_b32 s14, 0xb2365da1
	;; [unrolled: 1-line block ×8, first 2 shown]
	v_mul_f64 v[132:133], v[51:52], s[22:23]
	v_add_f64 v[70:71], v[29:30], -v[25:26]
	v_add_f64 v[37:38], v[37:38], v[45:46]
	v_add_f64 v[39:40], v[39:40], v[47:48]
	v_fma_f64 v[166:167], v[97:98], s[6:7], v[91:92]
	v_mul_f64 v[45:46], v[95:96], s[22:23]
	v_mul_f64 v[47:48], v[95:96], s[26:27]
	v_mul_f64 v[95:96], v[95:96], s[28:29]
	v_fma_f64 v[91:92], v[97:98], s[6:7], -v[91:92]
	v_fma_f64 v[180:181], v[82:83], s[20:21], v[112:113]
	v_fma_f64 v[182:183], v[84:85], s[20:21], -v[114:115]
	v_add_f64 v[168:169], v[3:4], v[168:169]
	v_fma_f64 v[170:171], v[97:98], s[20:21], v[93:94]
	v_add_f64 v[72:73], v[31:32], -v[27:28]
	v_mul_f64 v[120:121], v[80:81], s[22:23]
	v_mul_f64 v[122:123], v[78:79], s[22:23]
	v_fma_f64 v[93:94], v[97:98], s[20:21], -v[93:94]
	v_fma_f64 v[172:173], v[97:98], s[16:17], v[99:100]
	v_fma_f64 v[99:100], v[97:98], s[16:17], -v[99:100]
	v_fma_f64 v[184:185], v[43:44], s[12:13], -v[110:111]
	v_fma_f64 v[110:111], v[43:44], s[12:13], v[110:111]
	v_fma_f64 v[186:187], v[43:44], s[10:11], -v[41:42]
	v_fma_f64 v[41:42], v[43:44], s[10:11], v[41:42]
	v_fma_f64 v[188:189], v[76:77], s[16:17], -v[118:119]
	v_add_f64 v[37:38], v[29:30], v[37:38]
	v_add_f64 v[39:40], v[31:32], v[39:40]
	;; [unrolled: 1-line block ×3, first 2 shown]
	v_fma_f64 v[174:175], v[97:98], s[14:15], v[45:46]
	v_fma_f64 v[45:46], v[97:98], s[14:15], -v[45:46]
	v_fma_f64 v[176:177], v[97:98], s[12:13], v[47:48]
	v_fma_f64 v[47:48], v[97:98], s[12:13], -v[47:48]
	;; [unrolled: 2-line block ×5, first 2 shown]
	v_add_f64 v[91:92], v[1:2], v[91:92]
	v_add_f64 v[168:169], v[182:183], v[168:169]
	v_mul_f64 v[134:135], v[49:50], s[22:23]
	v_mul_f64 v[136:137], v[88:89], s[28:29]
	;; [unrolled: 1-line block ×3, first 2 shown]
	v_add_f64 v[170:171], v[1:2], v[170:171]
	v_add_f64 v[58:59], v[25:26], v[29:30]
	;; [unrolled: 1-line block ×3, first 2 shown]
	v_mul_f64 v[124:125], v[72:73], s[26:27]
	v_add_f64 v[33:34], v[33:34], v[37:38]
	v_add_f64 v[35:36], v[35:36], v[39:40]
	v_add_f64 v[166:167], v[180:181], v[166:167]
	v_fma_f64 v[180:181], v[82:83], s[14:15], v[132:133]
	v_mul_f64 v[126:127], v[70:71], s[26:27]
	v_fma_f64 v[190:191], v[66:67], s[14:15], v[120:121]
	v_fma_f64 v[192:193], v[68:69], s[14:15], -v[122:123]
	s_mov_b32 s43, 0x3fe5384d
	s_mov_b32 s45, 0x3fedeba7
	;; [unrolled: 1-line block ×4, first 2 shown]
	v_mul_f64 v[138:139], v[86:87], s[28:29]
	v_mul_f64 v[140:141], v[80:81], s[42:43]
	v_add_f64 v[91:92], v[112:113], v[91:92]
	v_add_f64 v[112:113], v[188:189], v[168:169]
	v_mul_f64 v[146:147], v[49:50], s[28:29]
	v_mul_f64 v[148:149], v[88:89], s[44:45]
	v_fma_f64 v[114:115], v[84:85], s[20:21], v[114:115]
	v_add_f64 v[97:98], v[3:4], v[97:98]
	v_fma_f64 v[182:183], v[84:85], s[14:15], -v[134:135]
	v_fma_f64 v[198:199], v[74:75], s[10:11], v[136:137]
	v_add_f64 v[102:103], v[3:4], v[102:103]
	v_add_f64 v[21:22], v[21:22], v[33:34]
	;; [unrolled: 1-line block ×3, first 2 shown]
	v_fma_f64 v[33:34], v[43:44], s[16:17], -v[106:107]
	v_fma_f64 v[35:36], v[43:44], s[16:17], v[106:107]
	v_fma_f64 v[106:107], v[43:44], s[14:15], -v[108:109]
	v_fma_f64 v[108:109], v[43:44], s[14:15], v[108:109]
	v_fma_f64 v[43:44], v[74:75], s[16:17], v[116:117]
	;; [unrolled: 1-line block ×3, first 2 shown]
	v_add_f64 v[170:171], v[180:181], v[170:171]
	v_add_f64 v[172:173], v[1:2], v[172:173]
	v_mul_f64 v[158:159], v[51:52], s[42:43]
	v_fma_f64 v[116:117], v[74:75], s[16:17], -v[116:117]
	v_mul_f64 v[128:129], v[64:65], s[28:29]
	v_mul_f64 v[130:131], v[62:63], s[28:29]
	v_fma_f64 v[194:195], v[58:59], s[12:13], v[124:125]
	v_fma_f64 v[196:197], v[60:61], s[12:13], -v[126:127]
	v_add_f64 v[112:113], v[192:193], v[112:113]
	s_mov_b32 s37, 0x3fefc445
	s_mov_b32 s39, 0x3fddbe06
	;; [unrolled: 1-line block ×4, first 2 shown]
	v_mul_f64 v[142:143], v[78:79], s[42:43]
	v_add_f64 v[21:22], v[25:26], v[21:22]
	v_add_f64 v[23:24], v[27:28], v[23:24]
	v_mul_f64 v[29:30], v[72:73], s[36:37]
	v_mul_f64 v[150:151], v[86:87], s[44:45]
	;; [unrolled: 1-line block ×4, first 2 shown]
	v_add_f64 v[43:44], v[43:44], v[166:167]
	v_fma_f64 v[118:119], v[76:77], s[16:17], v[118:119]
	v_fma_f64 v[200:201], v[76:77], s[10:11], -v[138:139]
	v_add_f64 v[97:98], v[114:115], v[97:98]
	v_fma_f64 v[188:189], v[84:85], s[10:11], -v[146:147]
	v_fma_f64 v[202:203], v[74:75], s[14:15], v[148:149]
	v_fma_f64 v[144:145], v[82:83], s[10:11], -v[144:145]
	v_fma_f64 v[146:147], v[84:85], s[10:11], v[146:147]
	v_add_f64 v[102:103], v[182:183], v[102:103]
	v_add_f64 v[170:171], v[198:199], v[170:171]
	;; [unrolled: 1-line block ×5, first 2 shown]
	v_mul_f64 v[162:163], v[88:89], s[38:39]
	v_fma_f64 v[120:121], v[66:67], s[14:15], -v[120:121]
	v_add_f64 v[91:92], v[116:117], v[91:92]
	v_add_f64 v[17:18], v[17:18], v[21:22]
	;; [unrolled: 1-line block ×3, first 2 shown]
	v_fma_f64 v[21:22], v[66:67], s[12:13], v[140:141]
	v_add_f64 v[172:173], v[1:2], v[174:175]
	v_fma_f64 v[25:26], v[54:55], s[10:11], v[128:129]
	v_fma_f64 v[27:28], v[56:57], s[10:11], -v[130:131]
	v_add_f64 v[43:44], v[190:191], v[43:44]
	v_add_f64 v[112:113], v[196:197], v[112:113]
	v_mul_f64 v[154:155], v[78:79], s[38:39]
	v_mul_f64 v[156:157], v[72:73], s[30:31]
	v_fma_f64 v[122:123], v[68:69], s[14:15], v[122:123]
	v_fma_f64 v[23:24], v[68:69], s[12:13], -v[142:143]
	v_fma_f64 v[114:115], v[58:59], s[16:17], v[29:30]
	v_fma_f64 v[180:181], v[76:77], s[14:15], -v[150:151]
	;; [unrolled: 2-line block ×3, first 2 shown]
	v_fma_f64 v[150:151], v[76:77], s[14:15], v[150:151]
	v_add_f64 v[97:98], v[118:119], v[97:98]
	v_add_f64 v[106:107], v[3:4], v[106:107]
	;; [unrolled: 1-line block ×8, first 2 shown]
	v_fma_f64 v[19:20], v[82:83], s[12:13], v[158:159]
	v_fma_f64 v[33:34], v[84:85], s[12:13], -v[160:161]
	v_add_f64 v[21:22], v[21:22], v[170:171]
	v_add_f64 v[43:44], v[194:195], v[43:44]
	;; [unrolled: 1-line block ×3, first 2 shown]
	v_mul_f64 v[37:38], v[80:81], s[34:35]
	v_fma_f64 v[124:125], v[58:59], s[12:13], -v[124:125]
	v_fma_f64 v[116:117], v[74:75], s[6:7], v[162:163]
	v_add_f64 v[91:92], v[120:121], v[91:92]
	v_mul_f64 v[164:165], v[86:87], s[38:39]
	v_add_f64 v[45:46], v[1:2], v[45:46]
	v_add_f64 v[108:109], v[3:4], v[108:109]
	s_mov_b32 s49, 0x3fcea1e5
	s_mov_b32 s48, s28
	v_add_f64 v[93:94], v[1:2], v[93:94]
	v_add_f64 v[104:105], v[3:4], v[104:105]
	;; [unrolled: 1-line block ×10, first 2 shown]
	v_fma_f64 v[27:28], v[82:83], s[12:13], -v[158:159]
	v_add_f64 v[9:10], v[25:26], v[43:44]
	v_fma_f64 v[43:44], v[84:85], s[12:13], v[160:161]
	v_add_f64 v[47:48], v[1:2], v[47:48]
	v_add_f64 v[110:111], v[3:4], v[110:111]
	;; [unrolled: 1-line block ×12, first 2 shown]
	v_fma_f64 v[106:107], v[66:67], s[6:7], -v[152:153]
	v_fma_f64 v[112:113], v[68:69], s[6:7], v[154:155]
	v_add_f64 v[2:3], v[5:6], v[13:14]
	v_add_f64 v[4:5], v[7:8], v[15:16]
	v_add_f64 v[6:7], v[180:181], v[17:18]
	v_fma_f64 v[13:14], v[68:69], s[6:7], -v[154:155]
	v_mul_f64 v[15:16], v[70:71], s[30:31]
	v_fma_f64 v[114:115], v[58:59], s[20:21], v[156:157]
	v_add_f64 v[91:92], v[124:125], v[91:92]
	v_add_f64 v[19:20], v[116:117], v[19:20]
	v_fma_f64 v[116:117], v[66:67], s[16:17], v[37:38]
	v_mul_f64 v[124:125], v[72:73], s[48:49]
	v_mul_f64 v[39:40], v[78:79], s[34:35]
	v_fma_f64 v[118:119], v[76:77], s[6:7], -v[164:165]
	v_add_f64 v[27:28], v[27:28], v[45:46]
	v_add_f64 v[43:44], v[43:44], v[108:109]
	v_fma_f64 v[45:46], v[74:75], s[6:7], -v[162:163]
	v_fma_f64 v[108:109], v[76:77], s[6:7], v[164:165]
	v_fma_f64 v[126:127], v[60:61], s[12:13], v[126:127]
	v_mul_f64 v[148:149], v[64:65], s[26:27]
	v_mul_f64 v[150:151], v[62:63], s[26:27]
	v_fma_f64 v[37:38], v[66:67], s[16:17], -v[37:38]
	v_add_f64 v[99:100], v[106:107], v[99:100]
	v_add_f64 v[35:36], v[112:113], v[35:36]
	v_fma_f64 v[106:107], v[58:59], s[20:21], -v[156:157]
	v_mul_f64 v[112:113], v[51:52], s[36:37]
	v_mul_f64 v[51:52], v[51:52], s[38:39]
	v_add_f64 v[6:7], v[13:14], v[6:7]
	v_fma_f64 v[13:14], v[60:61], s[20:21], -v[15:16]
	v_fma_f64 v[15:16], v[60:61], s[20:21], v[15:16]
	v_add_f64 v[102:103], v[114:115], v[102:103]
	v_mul_f64 v[114:115], v[49:50], s[36:37]
	v_add_f64 v[19:20], v[116:117], v[19:20]
	v_fma_f64 v[116:117], v[58:59], s[10:11], v[124:125]
	v_mul_f64 v[49:50], v[49:50], s[38:39]
	v_add_f64 v[33:34], v[118:119], v[33:34]
	v_fma_f64 v[118:119], v[68:69], s[16:17], -v[39:40]
	v_fma_f64 v[39:40], v[68:69], s[16:17], v[39:40]
	v_add_f64 v[27:28], v[45:46], v[27:28]
	v_add_f64 v[43:44], v[108:109], v[43:44]
	v_add_f64 v[97:98], v[126:127], v[97:98]
	v_mul_f64 v[126:127], v[70:71], s[48:49]
	v_fma_f64 v[45:46], v[54:55], s[12:13], v[148:149]
	v_fma_f64 v[108:109], v[56:57], s[12:13], -v[150:151]
	v_mul_f64 v[154:155], v[88:89], s[30:31]
	v_mul_f64 v[156:157], v[86:87], s[30:31]
	v_add_f64 v[99:100], v[106:107], v[99:100]
	v_fma_f64 v[106:107], v[54:55], s[12:13], -v[148:149]
	v_fma_f64 v[148:149], v[56:57], s[12:13], v[150:151]
	v_fma_f64 v[158:159], v[82:83], s[6:7], v[51:52]
	v_mul_f64 v[88:89], v[88:89], s[26:27]
	v_add_f64 v[35:36], v[15:16], v[35:36]
	v_fma_f64 v[15:16], v[82:83], s[16:17], v[112:113]
	v_fma_f64 v[150:151], v[84:85], s[16:17], -v[114:115]
	v_mul_f64 v[86:87], v[86:87], s[26:27]
	v_add_f64 v[116:117], v[116:117], v[19:20]
	v_fma_f64 v[19:20], v[82:83], s[16:17], -v[112:113]
	v_fma_f64 v[112:113], v[84:85], s[16:17], v[114:115]
	v_fma_f64 v[160:161], v[84:85], s[6:7], -v[49:50]
	s_mov_b32 s51, 0x3fea55e2
	v_add_f64 v[27:28], v[37:38], v[27:28]
	v_add_f64 v[37:38], v[39:40], v[43:44]
	v_fma_f64 v[39:40], v[82:83], s[6:7], -v[51:52]
	v_fma_f64 v[43:44], v[84:85], s[6:7], v[49:50]
	v_fma_f64 v[82:83], v[82:83], s[14:15], -v[132:133]
	v_fma_f64 v[84:85], v[84:85], s[14:15], v[134:135]
	s_mov_b32 s50, s30
	v_add_f64 v[33:34], v[118:119], v[33:34]
	v_fma_f64 v[118:119], v[60:61], s[10:11], -v[126:127]
	v_fma_f64 v[49:50], v[58:59], s[10:11], -v[124:125]
	v_fma_f64 v[51:52], v[60:61], s[10:11], v[126:127]
	v_fma_f64 v[124:125], v[76:77], s[20:21], -v[156:157]
	v_mul_f64 v[126:127], v[80:81], s[48:49]
	v_mul_f64 v[132:133], v[78:79], s[48:49]
	v_add_f64 v[15:16], v[15:16], v[120:121]
	v_add_f64 v[120:121], v[150:151], v[122:123]
	v_fma_f64 v[122:123], v[74:75], s[20:21], v[154:155]
	v_add_f64 v[134:135], v[158:159], v[174:175]
	v_add_f64 v[19:20], v[19:20], v[47:48]
	;; [unrolled: 1-line block ×3, first 2 shown]
	v_fma_f64 v[110:111], v[74:75], s[20:21], -v[154:155]
	v_fma_f64 v[112:113], v[76:77], s[20:21], v[156:157]
	v_add_f64 v[150:151], v[160:161], v[176:177]
	v_fma_f64 v[154:155], v[74:75], s[12:13], v[88:89]
	v_fma_f64 v[156:157], v[76:77], s[12:13], -v[86:87]
	v_mul_f64 v[80:81], v[80:81], s[50:51]
	v_mul_f64 v[78:79], v[78:79], s[50:51]
	v_add_f64 v[39:40], v[39:40], v[95:96]
	v_add_f64 v[41:42], v[43:44], v[41:42]
	v_fma_f64 v[43:44], v[74:75], s[12:13], -v[88:89]
	v_fma_f64 v[86:87], v[76:77], s[12:13], v[86:87]
	v_add_f64 v[82:83], v[82:83], v[93:94]
	v_add_f64 v[84:85], v[84:85], v[104:105]
	v_fma_f64 v[74:75], v[74:75], s[10:11], -v[136:137]
	v_fma_f64 v[76:77], v[76:77], s[10:11], v[138:139]
	v_mul_f64 v[31:32], v[70:71], s[36:37]
	v_fma_f64 v[93:94], v[66:67], s[10:11], v[126:127]
	v_add_f64 v[88:89], v[124:125], v[120:121]
	v_add_f64 v[15:16], v[122:123], v[15:16]
	v_fma_f64 v[95:96], v[68:69], s[10:11], -v[132:133]
	v_mul_f64 v[104:105], v[72:73], s[38:39]
	v_mul_f64 v[120:121], v[70:71], s[38:39]
	v_add_f64 v[19:20], v[110:111], v[19:20]
	v_add_f64 v[47:48], v[112:113], v[47:48]
	v_fma_f64 v[110:111], v[66:67], s[10:11], -v[126:127]
	v_fma_f64 v[112:113], v[68:69], s[10:11], v[132:133]
	v_add_f64 v[122:123], v[154:155], v[134:135]
	v_add_f64 v[124:125], v[156:157], v[150:151]
	v_fma_f64 v[126:127], v[66:67], s[20:21], v[80:81]
	v_fma_f64 v[132:133], v[68:69], s[20:21], -v[78:79]
	v_mul_f64 v[72:73], v[72:73], s[22:23]
	v_mul_f64 v[70:71], v[70:71], s[22:23]
	v_add_f64 v[39:40], v[43:44], v[39:40]
	v_add_f64 v[41:42], v[86:87], v[41:42]
	v_fma_f64 v[43:44], v[66:67], s[20:21], -v[80:81]
	v_fma_f64 v[78:79], v[68:69], s[20:21], v[78:79]
	v_add_f64 v[74:75], v[74:75], v[82:83]
	v_add_f64 v[76:77], v[76:77], v[84:85]
	v_fma_f64 v[66:67], v[66:67], s[12:13], -v[140:141]
	v_fma_f64 v[68:69], v[68:69], s[12:13], v[142:143]
	v_fma_f64 v[166:167], v[60:61], s[16:17], -v[31:32]
	v_mul_f64 v[17:18], v[64:65], s[38:39]
	v_mul_f64 v[25:26], v[62:63], s[38:39]
	v_add_f64 v[6:7], v[13:14], v[6:7]
	v_mul_f64 v[13:14], v[64:65], s[50:51]
	v_mul_f64 v[152:153], v[62:63], s[50:51]
	v_add_f64 v[15:16], v[93:94], v[15:16]
	v_add_f64 v[80:81], v[95:96], v[88:89]
	v_fma_f64 v[82:83], v[58:59], s[6:7], v[104:105]
	v_fma_f64 v[84:85], v[60:61], s[6:7], -v[120:121]
	v_mul_f64 v[86:87], v[64:65], s[22:23]
	v_mul_f64 v[88:89], v[62:63], s[22:23]
	v_add_f64 v[19:20], v[110:111], v[19:20]
	v_add_f64 v[47:48], v[112:113], v[47:48]
	v_fma_f64 v[93:94], v[58:59], s[6:7], -v[104:105]
	v_fma_f64 v[95:96], v[60:61], s[6:7], v[120:121]
	v_add_f64 v[104:105], v[126:127], v[122:123]
	v_add_f64 v[110:111], v[132:133], v[124:125]
	v_fma_f64 v[112:113], v[58:59], s[14:15], v[72:73]
	v_fma_f64 v[120:121], v[60:61], s[14:15], -v[70:71]
	v_mul_f64 v[64:65], v[64:65], s[36:37]
	v_mul_f64 v[62:63], v[62:63], s[36:37]
	v_add_f64 v[39:40], v[43:44], v[39:40]
	v_add_f64 v[41:42], v[78:79], v[41:42]
	v_fma_f64 v[43:44], v[58:59], s[14:15], -v[72:73]
	v_fma_f64 v[70:71], v[60:61], s[14:15], v[70:71]
	v_add_f64 v[66:67], v[66:67], v[74:75]
	v_add_f64 v[68:69], v[68:69], v[76:77]
	v_fma_f64 v[29:30], v[58:59], s[16:17], -v[29:30]
	v_fma_f64 v[31:32], v[60:61], s[16:17], v[31:32]
	v_add_f64 v[23:24], v[166:167], v[23:24]
	v_fma_f64 v[144:145], v[54:55], s[6:7], v[17:18]
	v_fma_f64 v[146:147], v[56:57], s[6:7], -v[25:26]
	v_add_f64 v[33:34], v[118:119], v[33:34]
	v_fma_f64 v[114:115], v[54:55], s[20:21], v[13:14]
	v_fma_f64 v[118:119], v[56:57], s[20:21], -v[152:153]
	v_add_f64 v[49:50], v[49:50], v[27:28]
	v_add_f64 v[58:59], v[51:52], v[37:38]
	v_fma_f64 v[37:38], v[54:55], s[20:21], -v[13:14]
	v_add_f64 v[51:52], v[82:83], v[15:16]
	v_add_f64 v[72:73], v[84:85], v[80:81]
	v_fma_f64 v[74:75], v[54:55], s[14:15], v[86:87]
	v_fma_f64 v[76:77], v[56:57], s[14:15], -v[88:89]
	v_add_f64 v[78:79], v[93:94], v[19:20]
	v_add_f64 v[80:81], v[95:96], v[47:48]
	v_fma_f64 v[47:48], v[54:55], s[14:15], -v[86:87]
	v_fma_f64 v[82:83], v[56:57], s[14:15], v[88:89]
	v_add_f64 v[84:85], v[112:113], v[104:105]
	v_add_f64 v[86:87], v[120:121], v[110:111]
	v_fma_f64 v[88:89], v[54:55], s[16:17], v[64:65]
	v_fma_f64 v[93:94], v[56:57], s[16:17], -v[62:63]
	v_add_f64 v[43:44], v[43:44], v[39:40]
	v_add_f64 v[70:71], v[70:71], v[41:42]
	v_fma_f64 v[64:65], v[54:55], s[16:17], -v[64:65]
	v_fma_f64 v[62:63], v[56:57], s[16:17], v[62:63]
	v_fma_f64 v[60:61], v[56:57], s[20:21], v[152:153]
	v_fma_f64 v[128:129], v[54:55], s[10:11], -v[128:129]
	v_fma_f64 v[130:131], v[56:57], s[10:11], v[130:131]
	v_add_f64 v[66:67], v[29:30], v[66:67]
	v_add_f64 v[68:69], v[31:32], v[68:69]
	v_fma_f64 v[54:55], v[54:55], s[6:7], -v[17:18]
	v_fma_f64 v[56:57], v[56:57], s[6:7], v[25:26]
	v_add_f64 v[17:18], v[144:145], v[21:22]
	v_add_f64 v[19:20], v[146:147], v[23:24]
	s_load_dwordx2 s[46:47], s[46:47], 0x0
	v_add_f64 v[21:22], v[45:46], v[102:103]
	v_add_f64 v[23:24], v[108:109], v[6:7]
	;; [unrolled: 1-line block ×20, first 2 shown]
	v_mad_u32_u24 v1, 0x9c0, v90, 0
	v_lshl_add_u32 v0, v255, 4, v1
	ds_write_b128 v0, v[2:5]
	ds_write_b128 v0, v[9:12] offset:192
	ds_write_b128 v0, v[17:20] offset:384
	;; [unrolled: 1-line block ×12, first 2 shown]
	s_waitcnt lgkmcnt(0)
	s_barrier
	buffer_gl0_inv
	s_and_saveexec_b32 s33, s9
	s_cbranch_execz .LBB0_19
; %bb.18:
	v_mul_hi_u32 v0, 0x13b13b14, v90
	v_mul_lo_u32 v2, v53, -13
	s_add_i32 s9, 0, 0x7ec0
	v_mul_u32_u24_e32 v0, 13, v0
	v_sub_nc_u32_e32 v205, v90, v0
	v_mul_lo_u32 v4, v205, v53
	v_add_nc_u32_e32 v0, 0x9c, v205
	v_mul_lo_u32 v3, v0, v53
	v_and_b32_e32 v5, 63, v4
	v_lshrrev_b32_e32 v6, 2, v4
	v_lshrrev_b32_e32 v0, 8, v4
	v_lshl_add_u32 v11, v5, 4, 0
	v_lshrrev_b32_e32 v5, 2, v3
	v_and_b32_e32 v4, 0x3f0, v6
	v_add_nc_u32_e32 v6, v3, v2
	v_and_b32_e32 v7, 63, v3
	v_and_b32_e32 v0, 0x3f0, v0
	v_lshrrev_b32_e32 v3, 8, v3
	v_and_b32_e32 v8, 0x3f0, v5
	v_lshrrev_b32_e32 v9, 2, v6
	v_add_nc_u32_e32 v4, s9, v4
	v_lshl_add_u32 v7, v7, 4, 0
	v_and_b32_e32 v12, 63, v6
	v_add_nc_u32_e32 v23, v6, v2
	v_add_nc_u32_e32 v0, s9, v0
	v_and_b32_e32 v19, 0x3f0, v3
	v_lshrrev_b32_e32 v20, 8, v6
	v_add_nc_u32_e32 v21, s9, v8
	v_and_b32_e32 v24, 0x3f0, v9
	ds_read_b128 v[3:6], v4 offset:1024
	ds_read_b128 v[15:18], v0 offset:2048
	;; [unrolled: 1-line block ×3, first 2 shown]
	v_lshl_add_u32 v25, v12, 4, 0
	ds_read_b128 v[11:14], v11 offset:32448
	v_lshrrev_b32_e32 v26, 2, v23
	v_and_b32_e32 v27, 63, v23
	v_add_nc_u32_e32 v0, s9, v19
	v_and_b32_e32 v31, 0x3f0, v20
	ds_read_b128 v[19:22], v21 offset:1024
	v_add_nc_u32_e32 v28, s9, v24
	v_add_nc_u32_e32 v49, v23, v2
	v_lshrrev_b32_e32 v61, 8, v23
	v_and_b32_e32 v32, 0x3f0, v26
	v_lshl_add_u32 v37, v27, 4, 0
	ds_read_b128 v[23:26], v25 offset:32448
	ds_read_b128 v[27:30], v28 offset:1024
	v_lshrrev_b32_e32 v41, 2, v49
	v_and_b32_e32 v42, 63, v49
	ds_read_b128 v[33:36], v0 offset:2048
	ds_read_b128 v[37:40], v37 offset:32448
	v_add_nc_u32_e32 v0, s9, v31
	v_and_b32_e32 v50, 0x3f0, v41
	v_add_nc_u32_e32 v45, s9, v32
	v_lshl_add_u32 v51, v42, 4, 0
	s_waitcnt lgkmcnt(5)
	v_mul_f64 v[31:32], v[13:14], v[5:6]
	v_mul_f64 v[5:6], v[11:12], v[5:6]
	ds_read_b128 v[41:44], v0 offset:2048
	ds_read_b128 v[45:48], v45 offset:1024
	v_add_nc_u32_e32 v0, s9, v50
	v_add_nc_u32_e32 v62, v49, v2
	s_waitcnt lgkmcnt(6)
	v_mul_f64 v[57:58], v[9:10], v[21:22]
	v_mul_f64 v[21:22], v[7:8], v[21:22]
	v_lshrrev_b32_e32 v63, 8, v49
	ds_read_b128 v[49:52], v51 offset:32448
	ds_read_b128 v[53:56], v0 offset:1024
	v_and_b32_e32 v0, 0x3f0, v61
	v_lshrrev_b32_e32 v61, 2, v62
	s_waitcnt lgkmcnt(6)
	v_mul_f64 v[59:60], v[25:26], v[29:30]
	v_mul_f64 v[29:30], v[23:24], v[29:30]
	v_and_b32_e32 v63, 0x3f0, v63
	v_and_b32_e32 v64, 63, v62
	v_add_nc_u32_e32 v0, s9, v0
	v_and_b32_e32 v61, 0x3f0, v61
	v_add_nc_u32_e32 v65, v62, v2
	v_add_nc_u32_e32 v63, s9, v63
	v_fma_f64 v[95:96], v[11:12], v[3:4], -v[31:32]
	v_fma_f64 v[127:128], v[13:14], v[3:4], v[5:6]
	ds_read_b128 v[3:6], v0 offset:2048
	ds_read_b128 v[11:14], v63 offset:2048
	v_add_nc_u32_e32 v0, s9, v61
	v_fma_f64 v[129:130], v[7:8], v[19:20], -v[57:58]
	v_fma_f64 v[131:132], v[9:10], v[19:20], v[21:22]
	v_lshl_add_u32 v19, v64, 4, 0
	s_waitcnt lgkmcnt(4)
	v_mul_f64 v[31:32], v[39:40], v[47:48]
	v_mul_f64 v[47:48], v[37:38], v[47:48]
	ds_read_b128 v[7:10], v0 offset:1024
	v_fma_f64 v[133:134], v[23:24], v[27:28], -v[59:60]
	ds_read_b128 v[19:22], v19 offset:32448
	v_fma_f64 v[135:136], v[25:26], v[27:28], v[29:30]
	s_waitcnt lgkmcnt(4)
	v_mul_f64 v[27:28], v[49:50], v[55:56]
	v_lshrrev_b32_e32 v0, 8, v62
	v_lshrrev_b32_e32 v23, 8, v65
	v_lshrrev_b32_e32 v24, 2, v65
	v_and_b32_e32 v25, 63, v65
	v_mul_f64 v[57:58], v[51:52], v[55:56]
	v_and_b32_e32 v0, 0x3f0, v0
	v_and_b32_e32 v23, 0x3f0, v23
	;; [unrolled: 1-line block ×3, first 2 shown]
	v_lshl_add_u32 v30, v25, 4, 0
	v_add_nc_u32_e32 v0, s9, v0
	v_add_nc_u32_e32 v29, s9, v23
	v_fma_f64 v[137:138], v[37:38], v[45:46], -v[31:32]
	v_add_nc_u32_e32 v37, s9, v24
	s_waitcnt lgkmcnt(0)
	v_mul_f64 v[31:32], v[21:22], v[9:10]
	v_mul_f64 v[9:10], v[19:20], v[9:10]
	v_fma_f64 v[139:140], v[39:40], v[45:46], v[47:48]
	ds_read_b128 v[23:26], v0 offset:2048
	ds_read_b128 v[91:94], v29 offset:2048
	v_fma_f64 v[143:144], v[51:52], v[53:54], v[27:28]
	ds_read_b128 v[27:30], v30 offset:32448
	ds_read_b128 v[37:40], v37 offset:1024
	v_add_nc_u32_e32 v0, v65, v2
	v_fma_f64 v[141:142], v[49:50], v[53:54], -v[57:58]
	v_fma_f64 v[145:146], v[19:20], v[7:8], -v[31:32]
	v_fma_f64 v[147:148], v[21:22], v[7:8], v[9:10]
	v_lshrrev_b32_e32 v19, 2, v0
	s_waitcnt lgkmcnt(0)
	v_mul_f64 v[7:8], v[29:30], v[39:40]
	v_mul_f64 v[9:10], v[27:28], v[39:40]
	v_and_b32_e32 v20, 63, v0
	v_and_b32_e32 v19, 0x3f0, v19
	v_lshl_add_u32 v20, v20, 4, 0
	v_add_nc_u32_e32 v19, s9, v19
	v_fma_f64 v[149:150], v[27:28], v[37:38], -v[7:8]
	v_fma_f64 v[151:152], v[29:30], v[37:38], v[9:10]
	ds_read_b128 v[7:10], v19 offset:1024
	ds_read_b128 v[19:22], v20 offset:32448
	v_add_nc_u32_e32 v29, v0, v2
	v_lshrrev_b32_e32 v0, 8, v0
	v_lshrrev_b32_e32 v27, 8, v29
	v_and_b32_e32 v0, 0x3f0, v0
	v_and_b32_e32 v27, 0x3f0, v27
	v_add_nc_u32_e32 v0, s9, v0
	v_add_nc_u32_e32 v27, s9, v27
	ds_read_b128 v[103:106], v0 offset:2048
	ds_read_b128 v[107:110], v27 offset:2048
	s_waitcnt lgkmcnt(2)
	v_mul_f64 v[27:28], v[21:22], v[9:10]
	v_mul_f64 v[9:10], v[19:20], v[9:10]
	v_lshrrev_b32_e32 v0, 2, v29
	v_and_b32_e32 v0, 0x3f0, v0
	v_add_nc_u32_e32 v0, s9, v0
	v_fma_f64 v[153:154], v[19:20], v[7:8], -v[27:28]
	v_fma_f64 v[155:156], v[21:22], v[7:8], v[9:10]
	v_and_b32_e32 v7, 63, v29
	v_lshl_add_u32 v7, v7, 4, 0
	ds_read_b128 v[7:10], v7 offset:32448
	ds_read_b128 v[19:22], v0 offset:1024
	v_add_nc_u32_e32 v0, v29, v2
	v_add_nc_u32_e32 v29, v0, v2
	s_waitcnt lgkmcnt(0)
	v_mul_f64 v[27:28], v[9:10], v[21:22]
	v_fma_f64 v[157:158], v[7:8], v[19:20], -v[27:28]
	v_mul_f64 v[7:8], v[7:8], v[21:22]
	v_fma_f64 v[159:160], v[9:10], v[19:20], v[7:8]
	v_lshrrev_b32_e32 v7, 2, v0
	v_lshrrev_b32_e32 v8, 8, v0
	;; [unrolled: 1-line block ×3, first 2 shown]
	v_and_b32_e32 v0, 63, v0
	v_and_b32_e32 v7, 0x3f0, v7
	v_and_b32_e32 v8, 0x3f0, v8
	v_and_b32_e32 v9, 0x3f0, v9
	v_lshl_add_u32 v0, v0, 4, 0
	v_add_nc_u32_e32 v7, s9, v7
	v_add_nc_u32_e32 v27, s9, v8
	;; [unrolled: 1-line block ×3, first 2 shown]
	ds_read_b128 v[7:10], v7 offset:1024
	ds_read_b128 v[19:22], v0 offset:32448
	;; [unrolled: 1-line block ×4, first 2 shown]
	v_lshrrev_b32_e32 v0, 2, v29
	v_and_b32_e32 v0, 0x3f0, v0
	v_add_nc_u32_e32 v0, s9, v0
	s_waitcnt lgkmcnt(2)
	v_mul_f64 v[27:28], v[21:22], v[9:10]
	v_mul_f64 v[9:10], v[19:20], v[9:10]
	v_fma_f64 v[161:162], v[19:20], v[7:8], -v[27:28]
	v_fma_f64 v[163:164], v[21:22], v[7:8], v[9:10]
	v_and_b32_e32 v7, 63, v29
	v_lshl_add_u32 v7, v7, 4, 0
	ds_read_b128 v[7:10], v7 offset:32448
	ds_read_b128 v[19:22], v0 offset:1024
	v_add_nc_u32_e32 v0, v29, v2
	v_add_nc_u32_e32 v2, v0, v2
	s_waitcnt lgkmcnt(0)
	v_mul_f64 v[27:28], v[9:10], v[21:22]
	v_fma_f64 v[165:166], v[7:8], v[19:20], -v[27:28]
	v_mul_f64 v[7:8], v[7:8], v[21:22]
	v_fma_f64 v[167:168], v[9:10], v[19:20], v[7:8]
	v_lshrrev_b32_e32 v7, 2, v0
	v_lshrrev_b32_e32 v8, 8, v0
	;; [unrolled: 1-line block ×3, first 2 shown]
	v_and_b32_e32 v0, 63, v0
	v_and_b32_e32 v7, 0x3f0, v7
	v_and_b32_e32 v8, 0x3f0, v8
	v_and_b32_e32 v9, 0x3f0, v9
	v_lshl_add_u32 v0, v0, 4, 0
	v_add_nc_u32_e32 v7, s9, v7
	v_add_nc_u32_e32 v27, s9, v8
	;; [unrolled: 1-line block ×3, first 2 shown]
	ds_read_b128 v[7:10], v7 offset:1024
	ds_read_b128 v[19:22], v0 offset:32448
	;; [unrolled: 1-line block ×4, first 2 shown]
	v_lshrrev_b32_e32 v0, 2, v2
	v_and_b32_e32 v2, 63, v2
	v_and_b32_e32 v0, 0x3f0, v0
	v_lshl_add_u32 v2, v2, 4, 0
	v_add_nc_u32_e32 v0, s9, v0
	s_waitcnt lgkmcnt(2)
	v_mul_f64 v[27:28], v[21:22], v[9:10]
	v_mul_f64 v[9:10], v[19:20], v[9:10]
	v_fma_f64 v[169:170], v[19:20], v[7:8], -v[27:28]
	v_fma_f64 v[171:172], v[21:22], v[7:8], v[9:10]
	ds_read_b128 v[7:10], v2 offset:32448
	ds_read_b128 v[19:22], v0 offset:1024
	v_mul_i32_i24_e32 v0, 0xfffff700, v90
	v_lshlrev_b32_e32 v2, 4, v255
	v_add3_u32 v0, v1, v0, v2
	v_mul_u32_u24_e32 v1, 12, v205
	v_lshlrev_b32_e32 v51, 4, v1
	s_waitcnt lgkmcnt(0)
	v_mul_f64 v[27:28], v[9:10], v[21:22]
	v_fma_f64 v[173:174], v[7:8], v[19:20], -v[27:28]
	v_mul_f64 v[7:8], v[7:8], v[21:22]
	v_fma_f64 v[175:176], v[9:10], v[19:20], v[7:8]
	global_load_dwordx4 v[7:10], v51, s[24:25] offset:80
	ds_read_b128 v[19:22], v0 offset:14976
	ds_read_b128 v[27:30], v0 offset:17472
	global_load_dwordx4 v[37:40], v51, s[24:25] offset:64
	s_waitcnt vmcnt(1) lgkmcnt(1)
	v_mul_f64 v[1:2], v[21:22], v[9:10]
	v_fma_f64 v[177:178], v[19:20], v[7:8], v[1:2]
	v_mul_f64 v[1:2], v[19:20], v[9:10]
	v_fma_f64 v[183:184], v[21:22], v[7:8], -v[1:2]
	s_clause 0x1
	global_load_dwordx4 v[7:10], v51, s[24:25] offset:96
	global_load_dwordx4 v[19:22], v51, s[24:25] offset:112
	s_waitcnt vmcnt(1) lgkmcnt(0)
	v_mul_f64 v[1:2], v[29:30], v[9:10]
	v_fma_f64 v[49:50], v[27:28], v[7:8], v[1:2]
	v_mul_f64 v[1:2], v[27:28], v[9:10]
	v_add_f64 v[179:180], v[177:178], -v[49:50]
	v_fma_f64 v[45:46], v[29:30], v[7:8], -v[1:2]
	ds_read_b128 v[7:10], v0 offset:12480
	ds_read_b128 v[27:30], v0 offset:9984
	s_waitcnt lgkmcnt(1)
	v_mul_f64 v[1:2], v[9:10], v[39:40]
	v_mul_f64 v[207:208], v[179:180], s[38:39]
	v_add_f64 v[181:182], v[183:184], v[45:46]
	v_mul_f64 v[231:232], v[179:180], s[26:27]
	v_mul_f64 v[101:102], v[179:180], s[50:51]
	v_fma_f64 v[61:62], v[7:8], v[37:38], v[1:2]
	v_mul_f64 v[1:2], v[7:8], v[39:40]
	v_fma_f64 v[63:64], v[9:10], v[37:38], -v[1:2]
	ds_read_b128 v[7:10], v0 offset:19968
	ds_read_b128 v[37:40], v0 offset:22464
	s_waitcnt vmcnt(0) lgkmcnt(1)
	v_mul_f64 v[1:2], v[9:10], v[21:22]
	v_fma_f64 v[47:48], v[7:8], v[19:20], v[1:2]
	v_mul_f64 v[1:2], v[7:8], v[21:22]
	v_fma_f64 v[55:56], v[9:10], v[19:20], -v[1:2]
	s_clause 0x1
	global_load_dwordx4 v[7:10], v51, s[24:25] offset:48
	global_load_dwordx4 v[19:22], v51, s[24:25] offset:32
	s_waitcnt vmcnt(1)
	v_mul_f64 v[1:2], v[29:30], v[9:10]
	v_fma_f64 v[75:76], v[27:28], v[7:8], v[1:2]
	v_mul_f64 v[1:2], v[27:28], v[9:10]
	v_fma_f64 v[77:78], v[29:30], v[7:8], -v[1:2]
	s_clause 0x1
	global_load_dwordx4 v[7:10], v51, s[24:25] offset:128
	global_load_dwordx4 v[27:30], v51, s[24:25] offset:144
	s_waitcnt vmcnt(1) lgkmcnt(0)
	v_mul_f64 v[1:2], v[39:40], v[9:10]
	v_fma_f64 v[57:58], v[37:38], v[7:8], v[1:2]
	v_mul_f64 v[1:2], v[37:38], v[9:10]
	v_fma_f64 v[59:60], v[39:40], v[7:8], -v[1:2]
	ds_read_b128 v[7:10], v0 offset:7488
	ds_read_b128 v[37:40], v0 offset:4992
	s_waitcnt lgkmcnt(1)
	v_mul_f64 v[1:2], v[9:10], v[21:22]
	v_fma_f64 v[83:84], v[7:8], v[19:20], v[1:2]
	v_mul_f64 v[1:2], v[7:8], v[21:22]
	v_fma_f64 v[85:86], v[9:10], v[19:20], -v[1:2]
	ds_read_b128 v[7:10], v0 offset:24960
	ds_read_b128 v[19:22], v0 offset:27456
	s_waitcnt vmcnt(0) lgkmcnt(1)
	v_mul_f64 v[1:2], v[9:10], v[29:30]
	v_fma_f64 v[65:66], v[7:8], v[27:28], v[1:2]
	v_mul_f64 v[1:2], v[7:8], v[29:30]
	v_fma_f64 v[67:68], v[9:10], v[27:28], -v[1:2]
	s_clause 0x1
	global_load_dwordx4 v[7:10], v51, s[24:25] offset:16
	global_load_dwordx4 v[69:72], v51, s[24:25]
	s_waitcnt vmcnt(1)
	v_mul_f64 v[1:2], v[39:40], v[9:10]
	v_fma_f64 v[87:88], v[37:38], v[7:8], v[1:2]
	v_mul_f64 v[1:2], v[37:38], v[9:10]
	v_fma_f64 v[89:90], v[39:40], v[7:8], -v[1:2]
	ds_read_b128 v[7:10], v0 offset:2496
	ds_read_b128 v[29:32], v0
	s_waitcnt vmcnt(0) lgkmcnt(1)
	v_mul_f64 v[1:2], v[9:10], v[71:72]
	v_fma_f64 v[97:98], v[7:8], v[69:70], v[1:2]
	v_mul_f64 v[1:2], v[7:8], v[71:72]
	v_fma_f64 v[99:100], v[9:10], v[69:70], -v[1:2]
	s_clause 0x1
	global_load_dwordx4 v[7:10], v51, s[24:25] offset:176
	global_load_dwordx4 v[37:40], v51, s[24:25] offset:160
	ds_read_b128 v[79:82], v0 offset:29952
	s_waitcnt vmcnt(1) lgkmcnt(0)
	v_mul_f64 v[1:2], v[81:82], v[9:10]
	v_fma_f64 v[71:72], v[79:80], v[7:8], v[1:2]
	v_mul_f64 v[1:2], v[79:80], v[9:10]
	v_mul_f64 v[9:10], v[135:136], v[43:44]
	v_fma_f64 v[73:74], v[81:82], v[7:8], -v[1:2]
	s_waitcnt vmcnt(0)
	v_mul_f64 v[1:2], v[21:22], v[39:40]
	v_mul_f64 v[7:8], v[129:130], v[35:36]
	v_fma_f64 v[9:10], v[41:42], v[133:134], -v[9:10]
	v_fma_f64 v[79:80], v[19:20], v[37:38], v[1:2]
	v_mul_f64 v[1:2], v[19:20], v[39:40]
	v_fma_f64 v[7:8], v[33:34], v[131:132], v[7:8]
	v_fma_f64 v[81:82], v[21:22], v[37:38], -v[1:2]
	v_mul_f64 v[1:2], v[95:96], v[17:18]
	v_fma_f64 v[0:1], v[15:16], v[127:128], v[1:2]
	buffer_store_dword v0, off, s[60:63], 0 offset:112 ; 4-byte Folded Spill
	buffer_store_dword v1, off, s[60:63], 0 offset:116 ; 4-byte Folded Spill
	v_mul_f64 v[1:2], v[127:128], v[17:18]
	v_mul_f64 v[17:18], v[139:140], v[5:6]
	;; [unrolled: 1-line block ×3, first 2 shown]
	v_add_f64 v[127:128], v[97:98], v[71:72]
	v_fma_f64 v[0:1], v[15:16], v[95:96], -v[1:2]
	v_fma_f64 v[17:18], v[3:4], v[137:138], -v[17:18]
	v_fma_f64 v[19:20], v[3:4], v[139:140], v[5:6]
	v_mul_f64 v[3:4], v[143:144], v[13:14]
	buffer_store_dword v0, off, s[60:63], 0 offset:80 ; 4-byte Folded Spill
	buffer_store_dword v1, off, s[60:63], 0 offset:84 ; 4-byte Folded Spill
	v_mul_f64 v[1:2], v[131:132], v[35:36]
	v_mul_f64 v[15:16], v[133:134], v[43:44]
	v_fma_f64 v[21:22], v[11:12], v[141:142], -v[3:4]
	v_mul_f64 v[3:4], v[141:142], v[13:14]
	v_add_f64 v[131:132], v[89:90], -v[81:82]
	v_add_f64 v[133:134], v[87:88], v[79:80]
	v_add_f64 v[137:138], v[83:84], -v[65:66]
	v_add_f64 v[139:140], v[85:86], v[67:68]
	v_mul_f64 v[43:44], v[179:180], s[28:29]
	v_fma_f64 v[1:2], v[33:34], v[129:130], -v[1:2]
	v_fma_f64 v[15:16], v[41:42], v[135:136], v[15:16]
	v_fma_f64 v[13:14], v[11:12], v[143:144], v[3:4]
	v_mul_f64 v[3:4], v[147:148], v[25:26]
	v_mul_f64 v[135:136], v[131:132], s[30:31]
	;; [unrolled: 1-line block ×3, first 2 shown]
	v_add_f64 v[143:144], v[85:86], -v[67:68]
	v_mul_f64 v[191:192], v[131:132], s[22:23]
	v_mul_f64 v[193:194], v[137:138], s[28:29]
	;; [unrolled: 1-line block ×6, first 2 shown]
	v_fma_f64 v[27:28], v[23:24], v[145:146], -v[3:4]
	v_mul_f64 v[3:4], v[145:146], v[25:26]
	v_fma_f64 v[11:12], v[133:134], s[20:21], -v[135:136]
	v_add_f64 v[145:146], v[83:84], v[65:66]
	v_mul_f64 v[195:196], v[143:144], s[28:29]
	v_mul_f64 v[219:220], v[143:144], s[44:45]
	;; [unrolled: 1-line block ×3, first 2 shown]
	v_fma_f64 v[51:52], v[23:24], v[147:148], v[3:4]
	v_mul_f64 v[3:4], v[151:152], v[93:94]
	v_mul_f64 v[147:148], v[143:144], s[34:35]
	v_mul_f64 v[23:24], v[131:132], s[36:37]
	v_fma_f64 v[35:36], v[91:92], v[149:150], -v[3:4]
	v_mul_f64 v[3:4], v[149:150], v[93:94]
	v_add_f64 v[149:150], v[75:76], -v[57:58]
	v_fma_f64 v[93:94], v[91:92], v[151:152], v[3:4]
	v_mul_f64 v[3:4], v[155:156], v[105:106]
	v_add_f64 v[151:152], v[77:78], v[59:60]
	v_mul_f64 v[197:198], v[149:150], s[42:43]
	v_mul_f64 v[221:222], v[149:150], s[38:39]
	;; [unrolled: 1-line block ×3, first 2 shown]
	v_fma_f64 v[37:38], v[103:104], v[153:154], -v[3:4]
	v_mul_f64 v[3:4], v[153:154], v[105:106]
	v_mul_f64 v[153:154], v[149:150], s[22:23]
	v_fma_f64 v[103:104], v[103:104], v[155:156], v[3:4]
	v_mul_f64 v[3:4], v[157:158], v[109:110]
	v_add_f64 v[155:156], v[77:78], -v[59:60]
	v_fma_f64 v[105:106], v[107:108], v[159:160], v[3:4]
	v_mul_f64 v[3:4], v[159:160], v[109:110]
	v_mul_f64 v[159:160], v[155:156], s[22:23]
	;; [unrolled: 1-line block ×5, first 2 shown]
	v_fma_f64 v[107:108], v[107:108], v[157:158], -v[3:4]
	v_mul_f64 v[3:4], v[161:162], v[113:114]
	v_add_f64 v[157:158], v[75:76], v[57:58]
	v_fma_f64 v[109:110], v[111:112], v[163:164], v[3:4]
	v_mul_f64 v[3:4], v[163:164], v[113:114]
	v_add_f64 v[113:114], v[97:98], -v[71:72]
	v_add_f64 v[163:164], v[63:64], v[55:56]
	v_fma_f64 v[111:112], v[111:112], v[161:162], -v[3:4]
	v_mul_f64 v[3:4], v[165:166], v[117:118]
	v_add_f64 v[161:162], v[61:62], -v[47:48]
	v_mul_f64 v[185:186], v[113:114], s[30:31]
	v_mul_f64 v[209:210], v[113:114], s[34:35]
	;; [unrolled: 1-line block ×3, first 2 shown]
	v_fma_f64 v[3:4], v[115:116], v[167:168], v[3:4]
	buffer_store_dword v3, off, s[60:63], 0 offset:120 ; 4-byte Folded Spill
	buffer_store_dword v4, off, s[60:63], 0 offset:124 ; 4-byte Folded Spill
	v_mul_f64 v[3:4], v[167:168], v[117:118]
	v_mul_f64 v[117:118], v[113:114], s[40:41]
	v_add_f64 v[167:168], v[63:64], -v[55:56]
	v_mul_f64 v[201:202], v[161:162], s[36:37]
	v_mul_f64 v[225:226], v[161:162], s[30:31]
	;; [unrolled: 1-line block ×3, first 2 shown]
	v_fma_f64 v[69:70], v[115:116], v[165:166], -v[3:4]
	v_mul_f64 v[3:4], v[169:170], v[121:122]
	v_add_f64 v[115:116], v[99:100], v[73:74]
	v_mul_f64 v[165:166], v[161:162], s[26:27]
	v_mul_f64 v[203:204], v[167:168], s[36:37]
	;; [unrolled: 1-line block ×4, first 2 shown]
	v_fma_f64 v[95:96], v[119:120], v[171:172], v[3:4]
	v_mul_f64 v[3:4], v[171:172], v[121:122]
	v_add_f64 v[121:122], v[89:90], v[81:82]
	v_mul_f64 v[171:172], v[167:168], s[26:27]
	v_fma_f64 v[3:4], v[119:120], v[169:170], -v[3:4]
	buffer_store_dword v3, off, s[60:63], 0 offset:96 ; 4-byte Folded Spill
	buffer_store_dword v4, off, s[60:63], 0 offset:100 ; 4-byte Folded Spill
	v_mul_f64 v[3:4], v[173:174], v[125:126]
	v_add_f64 v[119:120], v[87:88], -v[79:80]
	v_add_f64 v[169:170], v[61:62], v[47:48]
	v_fma_f64 v[3:4], v[123:124], v[175:176], v[3:4]
	buffer_store_dword v3, off, s[60:63], 0 offset:104 ; 4-byte Folded Spill
	buffer_store_dword v4, off, s[60:63], 0 offset:108 ; 4-byte Folded Spill
	v_mul_f64 v[3:4], v[175:176], v[125:126]
	v_add_f64 v[125:126], v[99:100], -v[73:74]
	v_add_f64 v[175:176], v[177:178], v[49:50]
	v_mul_f64 v[187:188], v[119:120], s[22:23]
	v_mul_f64 v[211:212], v[119:120], s[28:29]
	;; [unrolled: 1-line block ×3, first 2 shown]
	v_fma_f64 v[3:4], v[123:124], v[173:174], -v[3:4]
	buffer_store_dword v3, off, s[60:63], 0 offset:88 ; 4-byte Folded Spill
	buffer_store_dword v4, off, s[60:63], 0 offset:92 ; 4-byte Folded Spill
	v_fma_f64 v[3:4], v[115:116], s[6:7], v[117:118]
	v_mul_f64 v[123:124], v[119:120], s[30:31]
	v_mul_f64 v[129:130], v[125:126], s[40:41]
	v_add_f64 v[173:174], v[183:184], -v[45:46]
	v_mul_f64 v[189:190], v[125:126], s[30:31]
	v_mul_f64 v[213:214], v[125:126], s[34:35]
	;; [unrolled: 1-line block ×4, first 2 shown]
	v_add_f64 v[3:4], v[31:32], v[3:4]
	v_fma_f64 v[5:6], v[121:122], s[20:21], v[123:124]
	v_mul_f64 v[41:42], v[173:174], s[28:29]
	v_mul_f64 v[39:40], v[173:174], s[38:39]
	;; [unrolled: 1-line block ×5, first 2 shown]
	v_add_f64 v[3:4], v[5:6], v[3:4]
	v_fma_f64 v[5:6], v[127:128], s[6:7], -v[129:130]
	v_add_f64 v[5:6], v[29:30], v[5:6]
	v_add_f64 v[5:6], v[11:12], v[5:6]
	v_fma_f64 v[11:12], v[139:140], s[16:17], v[141:142]
	v_add_f64 v[3:4], v[11:12], v[3:4]
	v_fma_f64 v[11:12], v[145:146], s[16:17], -v[147:148]
	v_add_f64 v[5:6], v[11:12], v[5:6]
	v_fma_f64 v[11:12], v[151:152], s[14:15], v[153:154]
	v_add_f64 v[3:4], v[11:12], v[3:4]
	v_fma_f64 v[11:12], v[157:158], s[14:15], -v[159:160]
	;; [unrolled: 4-line block ×3, first 2 shown]
	v_add_f64 v[5:6], v[11:12], v[5:6]
	v_fma_f64 v[11:12], v[175:176], s[10:11], -v[41:42]
	v_add_f64 v[5:6], v[11:12], v[5:6]
	v_fma_f64 v[11:12], v[181:182], s[10:11], v[43:44]
	v_add_f64 v[3:4], v[11:12], v[3:4]
	v_mul_f64 v[11:12], v[5:6], v[7:8]
	v_mul_f64 v[7:8], v[3:4], v[7:8]
	v_fma_f64 v[3:4], v[3:4], v[1:2], -v[11:12]
	v_fma_f64 v[11:12], v[133:134], s[14:15], -v[191:192]
	v_fma_f64 v[1:2], v[5:6], v[1:2], v[7:8]
	v_fma_f64 v[5:6], v[115:116], s[20:21], v[185:186]
	;; [unrolled: 1-line block ×3, first 2 shown]
	buffer_store_dword v1, off, s[60:63], 0 ; 4-byte Folded Spill
	buffer_store_dword v2, off, s[60:63], 0 offset:4 ; 4-byte Folded Spill
	buffer_store_dword v3, off, s[60:63], 0 offset:8 ; 4-byte Folded Spill
	;; [unrolled: 1-line block ×3, first 2 shown]
	v_add_f64 v[5:6], v[31:32], v[5:6]
	v_add_f64 v[5:6], v[7:8], v[5:6]
	v_fma_f64 v[7:8], v[127:128], s[20:21], -v[189:190]
	v_add_f64 v[7:8], v[29:30], v[7:8]
	v_add_f64 v[7:8], v[11:12], v[7:8]
	v_fma_f64 v[11:12], v[139:140], s[10:11], v[193:194]
	v_add_f64 v[5:6], v[11:12], v[5:6]
	v_fma_f64 v[11:12], v[145:146], s[10:11], -v[195:196]
	v_add_f64 v[7:8], v[11:12], v[7:8]
	v_fma_f64 v[11:12], v[151:152], s[12:13], v[197:198]
	v_add_f64 v[5:6], v[11:12], v[5:6]
	v_fma_f64 v[11:12], v[157:158], s[12:13], -v[199:200]
	;; [unrolled: 4-line block ×3, first 2 shown]
	v_add_f64 v[7:8], v[11:12], v[7:8]
	v_fma_f64 v[11:12], v[175:176], s[6:7], -v[39:40]
	v_add_f64 v[11:12], v[11:12], v[7:8]
	v_fma_f64 v[7:8], v[181:182], s[6:7], v[207:208]
	v_add_f64 v[5:6], v[7:8], v[5:6]
	v_mul_f64 v[7:8], v[11:12], v[15:16]
	v_mul_f64 v[15:16], v[5:6], v[15:16]
	v_fma_f64 v[2:3], v[5:6], v[9:10], -v[7:8]
	v_mul_f64 v[4:5], v[149:150], s[48:49]
	v_fma_f64 v[0:1], v[11:12], v[9:10], v[15:16]
	v_fma_f64 v[9:10], v[115:116], s[16:17], v[209:210]
	;; [unrolled: 1-line block ×3, first 2 shown]
	v_fma_f64 v[15:16], v[133:134], s[10:11], -v[215:216]
	buffer_store_dword v0, off, s[60:63], 0 offset:16 ; 4-byte Folded Spill
	buffer_store_dword v1, off, s[60:63], 0 offset:20 ; 4-byte Folded Spill
	;; [unrolled: 1-line block ×4, first 2 shown]
	v_add_f64 v[9:10], v[31:32], v[9:10]
	v_add_f64 v[9:10], v[11:12], v[9:10]
	v_fma_f64 v[11:12], v[127:128], s[16:17], -v[213:214]
	v_add_f64 v[11:12], v[29:30], v[11:12]
	v_add_f64 v[11:12], v[15:16], v[11:12]
	v_fma_f64 v[15:16], v[139:140], s[14:15], v[217:218]
	v_add_f64 v[9:10], v[15:16], v[9:10]
	v_fma_f64 v[15:16], v[145:146], s[14:15], -v[219:220]
	v_add_f64 v[11:12], v[15:16], v[11:12]
	v_fma_f64 v[15:16], v[151:152], s[6:7], v[221:222]
	v_add_f64 v[9:10], v[15:16], v[9:10]
	v_fma_f64 v[15:16], v[157:158], s[6:7], -v[223:224]
	;; [unrolled: 4-line block ×3, first 2 shown]
	v_add_f64 v[11:12], v[15:16], v[11:12]
	v_fma_f64 v[15:16], v[175:176], s[12:13], -v[229:230]
	v_add_f64 v[15:16], v[15:16], v[11:12]
	v_fma_f64 v[11:12], v[181:182], s[12:13], v[231:232]
	v_add_f64 v[9:10], v[11:12], v[9:10]
	v_mul_f64 v[11:12], v[15:16], v[19:20]
	v_mul_f64 v[19:20], v[9:10], v[19:20]
	v_fma_f64 v[2:3], v[9:10], v[17:18], -v[11:12]
	v_mul_f64 v[8:9], v[137:138], s[30:31]
	v_fma_f64 v[10:11], v[133:134], s[16:17], -v[23:24]
	v_fma_f64 v[0:1], v[15:16], v[17:18], v[19:20]
	v_fma_f64 v[15:16], v[115:116], s[14:15], v[233:234]
	;; [unrolled: 1-line block ×3, first 2 shown]
	v_fma_f64 v[19:20], v[133:134], s[12:13], -v[239:240]
	buffer_store_dword v0, off, s[60:63], 0 offset:32 ; 4-byte Folded Spill
	buffer_store_dword v1, off, s[60:63], 0 offset:36 ; 4-byte Folded Spill
	;; [unrolled: 1-line block ×4, first 2 shown]
	v_add_f64 v[15:16], v[31:32], v[15:16]
	v_add_f64 v[15:16], v[17:18], v[15:16]
	v_fma_f64 v[17:18], v[127:128], s[14:15], -v[237:238]
	v_add_f64 v[17:18], v[29:30], v[17:18]
	v_add_f64 v[17:18], v[19:20], v[17:18]
	v_fma_f64 v[19:20], v[139:140], s[6:7], v[241:242]
	v_add_f64 v[15:16], v[19:20], v[15:16]
	v_fma_f64 v[19:20], v[145:146], s[6:7], -v[243:244]
	v_add_f64 v[17:18], v[19:20], v[17:18]
	v_fma_f64 v[19:20], v[151:152], s[16:17], v[245:246]
	v_add_f64 v[15:16], v[19:20], v[15:16]
	v_fma_f64 v[19:20], v[157:158], s[16:17], -v[247:248]
	;; [unrolled: 4-line block ×3, first 2 shown]
	v_add_f64 v[17:18], v[19:20], v[17:18]
	v_fma_f64 v[19:20], v[175:176], s[20:21], -v[253:254]
	v_add_f64 v[17:18], v[19:20], v[17:18]
	v_fma_f64 v[19:20], v[181:182], s[20:21], v[101:102]
	v_add_f64 v[15:16], v[19:20], v[15:16]
	v_mul_f64 v[19:20], v[17:18], v[13:14]
	v_mul_f64 v[13:14], v[15:16], v[13:14]
	v_fma_f64 v[2:3], v[15:16], v[21:22], -v[19:20]
	v_mul_f64 v[19:20], v[113:114], s[26:27]
	v_fma_f64 v[0:1], v[17:18], v[21:22], v[13:14]
	buffer_store_dword v0, off, s[60:63], 0 offset:48 ; 4-byte Folded Spill
	buffer_store_dword v1, off, s[60:63], 0 offset:52 ; 4-byte Folded Spill
	;; [unrolled: 1-line block ×4, first 2 shown]
	v_fma_f64 v[2:3], v[115:116], s[12:13], v[19:20]
	v_mul_f64 v[12:13], v[119:120], s[36:37]
	v_fma_f64 v[17:18], v[127:128], s[12:13], -v[25:26]
	v_fma_f64 v[14:15], v[139:140], s[20:21], v[8:9]
	v_mul_f64 v[0:1], v[161:162], s[38:39]
	v_fma_f64 v[8:9], v[139:140], s[20:21], -v[8:9]
	v_add_f64 v[2:3], v[31:32], v[2:3]
	v_fma_f64 v[6:7], v[121:122], s[16:17], v[12:13]
	v_add_f64 v[17:18], v[29:30], v[17:18]
	v_add_f64 v[2:3], v[6:7], v[2:3]
	;; [unrolled: 1-line block ×3, first 2 shown]
	v_mul_f64 v[6:7], v[179:180], s[22:23]
	v_add_f64 v[2:3], v[14:15], v[2:3]
	v_mul_f64 v[14:15], v[143:144], s[30:31]
	v_fma_f64 v[53:54], v[181:182], s[14:15], v[6:7]
	v_fma_f64 v[16:17], v[145:146], s[20:21], -v[14:15]
	v_add_f64 v[10:11], v[16:17], v[10:11]
	v_fma_f64 v[16:17], v[151:152], s[10:11], v[4:5]
	v_fma_f64 v[4:5], v[151:152], s[10:11], -v[4:5]
	v_add_f64 v[2:3], v[16:17], v[2:3]
	v_mul_f64 v[16:17], v[155:156], s[48:49]
	v_fma_f64 v[21:22], v[157:158], s[10:11], -v[16:17]
	v_add_f64 v[10:11], v[21:22], v[10:11]
	v_fma_f64 v[21:22], v[163:164], s[6:7], v[0:1]
	v_fma_f64 v[0:1], v[163:164], s[6:7], -v[0:1]
	v_add_f64 v[2:3], v[21:22], v[2:3]
	v_mul_f64 v[21:22], v[167:168], s[38:39]
	v_add_f64 v[2:3], v[53:54], v[2:3]
	v_fma_f64 v[91:92], v[169:170], s[6:7], -v[21:22]
	v_add_f64 v[10:11], v[91:92], v[10:11]
	v_fma_f64 v[91:92], v[175:176], s[14:15], -v[33:34]
	v_add_f64 v[10:11], v[91:92], v[10:11]
	v_mul_f64 v[53:54], v[10:11], v[51:52]
	v_mul_f64 v[51:52], v[2:3], v[51:52]
	v_fma_f64 v[53:54], v[2:3], v[27:28], -v[53:54]
	v_mul_f64 v[2:3], v[113:114], s[28:29]
	v_fma_f64 v[51:52], v[10:11], v[27:28], v[51:52]
	v_mul_f64 v[10:11], v[119:120], s[38:39]
	buffer_store_dword v51, off, s[60:63], 0 offset:64 ; 4-byte Folded Spill
	buffer_store_dword v52, off, s[60:63], 0 offset:68 ; 4-byte Folded Spill
	;; [unrolled: 1-line block ×4, first 2 shown]
	v_fma_f64 v[27:28], v[115:116], s[10:11], v[2:3]
	v_fma_f64 v[51:52], v[121:122], s[6:7], v[10:11]
	v_mul_f64 v[53:54], v[131:132], s[38:39]
	v_fma_f64 v[2:3], v[115:116], s[10:11], -v[2:3]
	v_fma_f64 v[10:11], v[121:122], s[6:7], -v[10:11]
	v_add_f64 v[27:28], v[31:32], v[27:28]
	v_fma_f64 v[113:114], v[133:134], s[6:7], -v[53:54]
	v_add_f64 v[2:3], v[31:32], v[2:3]
	v_add_f64 v[27:28], v[51:52], v[27:28]
	v_mul_f64 v[51:52], v[125:126], s[28:29]
	v_add_f64 v[2:3], v[10:11], v[2:3]
	v_fma_f64 v[91:92], v[127:128], s[10:11], -v[51:52]
	v_fma_f64 v[10:11], v[127:128], s[10:11], v[51:52]
	v_add_f64 v[91:92], v[29:30], v[91:92]
	v_add_f64 v[10:11], v[29:30], v[10:11]
	;; [unrolled: 1-line block ×3, first 2 shown]
	v_mul_f64 v[113:114], v[137:138], s[26:27]
	v_fma_f64 v[119:120], v[139:140], s[12:13], v[113:114]
	v_add_f64 v[27:28], v[119:120], v[27:28]
	v_mul_f64 v[119:120], v[143:144], s[26:27]
	v_fma_f64 v[125:126], v[145:146], s[12:13], -v[119:120]
	v_add_f64 v[91:92], v[125:126], v[91:92]
	v_mul_f64 v[125:126], v[149:150], s[50:51]
	v_fma_f64 v[131:132], v[151:152], s[20:21], v[125:126]
	v_add_f64 v[27:28], v[131:132], v[27:28]
	v_mul_f64 v[131:132], v[155:156], s[50:51]
	v_fma_f64 v[137:138], v[157:158], s[20:21], -v[131:132]
	v_add_f64 v[91:92], v[137:138], v[91:92]
	;; [unrolled: 6-line block ×3, first 2 shown]
	v_mul_f64 v[149:150], v[173:174], s[36:37]
	v_fma_f64 v[155:156], v[175:176], s[16:17], -v[149:150]
	v_add_f64 v[91:92], v[155:156], v[91:92]
	v_mul_f64 v[155:156], v[179:180], s[36:37]
	v_fma_f64 v[161:162], v[181:182], s[16:17], v[155:156]
	v_add_f64 v[27:28], v[161:162], v[27:28]
	v_mul_f64 v[161:162], v[91:92], v[93:94]
	v_mul_f64 v[167:168], v[27:28], v[93:94]
	v_fma_f64 v[93:94], v[27:28], v[35:36], -v[161:162]
	v_fma_f64 v[27:28], v[133:134], s[6:7], v[53:54]
	v_fma_f64 v[91:92], v[91:92], v[35:36], v[167:168]
	v_add_f64 v[10:11], v[27:28], v[10:11]
	v_fma_f64 v[27:28], v[139:140], s[12:13], -v[113:114]
	v_add_f64 v[2:3], v[27:28], v[2:3]
	v_fma_f64 v[27:28], v[145:146], s[12:13], v[119:120]
	v_add_f64 v[10:11], v[27:28], v[10:11]
	v_fma_f64 v[27:28], v[151:152], s[20:21], -v[125:126]
	v_add_f64 v[2:3], v[27:28], v[2:3]
	;; [unrolled: 4-line block ×3, first 2 shown]
	v_fma_f64 v[27:28], v[169:170], s[14:15], v[143:144]
	v_add_f64 v[10:11], v[27:28], v[10:11]
	v_fma_f64 v[27:28], v[175:176], s[16:17], v[149:150]
	v_add_f64 v[10:11], v[27:28], v[10:11]
	v_fma_f64 v[27:28], v[181:182], s[16:17], -v[155:156]
	v_add_f64 v[2:3], v[27:28], v[2:3]
	v_mul_f64 v[27:28], v[10:11], v[103:104]
	v_mul_f64 v[35:36], v[2:3], v[103:104]
	v_fma_f64 v[53:54], v[2:3], v[37:38], -v[27:28]
	v_fma_f64 v[2:3], v[115:116], s[12:13], -v[19:20]
	v_fma_f64 v[18:19], v[145:146], s[10:11], v[195:196]
	v_fma_f64 v[51:52], v[10:11], v[37:38], v[35:36]
	v_fma_f64 v[10:11], v[121:122], s[16:17], -v[12:13]
	v_add_f64 v[2:3], v[31:32], v[2:3]
	v_add_f64 v[12:13], v[29:30], v[97:98]
	;; [unrolled: 1-line block ×3, first 2 shown]
	v_fma_f64 v[10:11], v[127:128], s[6:7], v[129:130]
	v_add_f64 v[12:13], v[12:13], v[87:88]
	v_add_f64 v[2:3], v[8:9], v[2:3]
	v_fma_f64 v[8:9], v[127:128], s[20:21], v[189:190]
	v_add_f64 v[10:11], v[29:30], v[10:11]
	v_add_f64 v[12:13], v[12:13], v[83:84]
	v_add_f64 v[2:3], v[4:5], v[2:3]
	v_fma_f64 v[4:5], v[133:134], s[16:17], v[23:24]
	v_add_f64 v[8:9], v[29:30], v[8:9]
	;; [unrolled: 4-line block ×3, first 2 shown]
	v_add_f64 v[2:3], v[29:30], v[2:3]
	v_add_f64 v[12:13], v[12:13], v[177:178]
	;; [unrolled: 1-line block ×3, first 2 shown]
	v_fma_f64 v[4:5], v[145:146], s[20:21], v[14:15]
	v_add_f64 v[14:15], v[31:32], v[99:100]
	v_add_f64 v[12:13], v[12:13], v[49:50]
	;; [unrolled: 1-line block ×3, first 2 shown]
	v_fma_f64 v[4:5], v[157:158], s[10:11], v[16:17]
	v_fma_f64 v[16:17], v[121:122], s[10:11], -v[211:212]
	v_add_f64 v[14:15], v[14:15], v[89:90]
	v_add_f64 v[12:13], v[12:13], v[47:48]
	v_add_f64 v[2:3], v[4:5], v[2:3]
	v_fma_f64 v[4:5], v[169:170], s[6:7], v[21:22]
	v_fma_f64 v[20:21], v[145:146], s[16:17], v[147:148]
	v_add_f64 v[14:15], v[14:15], v[85:86]
	v_add_f64 v[12:13], v[12:13], v[57:58]
	v_mul_hi_u32 v22, 0x1a41a42, v206
	v_mad_u32_u24 v26, 0xa9, v22, v205
	v_mad_u64_u32 v[22:23], null, s2, v255, 0
	s_mul_i32 s2, s47, s8
	v_mad_u64_u32 v[24:25], null, s0, v26, 0
	v_add_f64 v[2:3], v[4:5], v[2:3]
	v_fma_f64 v[4:5], v[175:176], s[14:15], v[33:34]
	v_add_f64 v[14:15], v[14:15], v[77:78]
	v_add_f64 v[12:13], v[12:13], v[65:66]
	;; [unrolled: 1-line block ×3, first 2 shown]
	v_fma_f64 v[4:5], v[181:182], s[14:15], -v[6:7]
	v_add_f64 v[14:15], v[14:15], v[63:64]
	v_add_f64 v[12:13], v[12:13], v[79:80]
	;; [unrolled: 1-line block ×3, first 2 shown]
	v_mul_f64 v[4:5], v[2:3], v[105:106]
	v_add_f64 v[14:15], v[14:15], v[183:184]
	v_add_f64 v[12:13], v[12:13], v[71:72]
	v_mul_f64 v[6:7], v[0:1], v[105:106]
	v_fma_f64 v[35:36], v[0:1], v[107:108], -v[4:5]
	v_fma_f64 v[0:1], v[115:116], s[14:15], -v[233:234]
	v_fma_f64 v[4:5], v[133:134], s[12:13], v[239:240]
	v_add_f64 v[14:15], v[14:15], v[45:46]
	v_fma_f64 v[33:34], v[2:3], v[107:108], v[6:7]
	v_fma_f64 v[2:3], v[121:122], s[12:13], -v[235:236]
	v_add_f64 v[0:1], v[31:32], v[0:1]
	v_add_f64 v[14:15], v[14:15], v[55:56]
	;; [unrolled: 1-line block ×3, first 2 shown]
	v_fma_f64 v[2:3], v[139:140], s[6:7], -v[241:242]
	v_add_f64 v[14:15], v[14:15], v[59:60]
	v_add_f64 v[0:1], v[2:3], v[0:1]
	v_fma_f64 v[2:3], v[151:152], s[16:17], -v[245:246]
	v_add_f64 v[14:15], v[14:15], v[67:68]
	v_add_f64 v[0:1], v[2:3], v[0:1]
	;; [unrolled: 3-line block ×3, first 2 shown]
	v_fma_f64 v[2:3], v[127:128], s[14:15], v[237:238]
	v_add_f64 v[14:15], v[14:15], v[73:74]
	v_add_f64 v[2:3], v[29:30], v[2:3]
	;; [unrolled: 1-line block ×3, first 2 shown]
	v_fma_f64 v[4:5], v[145:146], s[6:7], v[243:244]
	v_add_f64 v[2:3], v[4:5], v[2:3]
	v_fma_f64 v[4:5], v[157:158], s[16:17], v[247:248]
	v_add_f64 v[2:3], v[4:5], v[2:3]
	;; [unrolled: 2-line block ×4, first 2 shown]
	v_fma_f64 v[4:5], v[181:182], s[20:21], -v[101:102]
	v_add_f64 v[0:1], v[4:5], v[0:1]
	v_mul_f64 v[4:5], v[2:3], v[109:110]
	v_mul_f64 v[6:7], v[0:1], v[109:110]
	v_fma_f64 v[105:106], v[0:1], v[111:112], -v[4:5]
	v_fma_f64 v[0:1], v[115:116], s[16:17], -v[209:210]
	;; [unrolled: 1-line block ×3, first 2 shown]
	v_fma_f64 v[103:104], v[2:3], v[111:112], v[6:7]
	v_fma_f64 v[6:7], v[127:128], s[16:17], v[213:214]
	v_add_f64 v[0:1], v[31:32], v[0:1]
	v_fma_f64 v[2:3], v[115:116], s[20:21], -v[185:186]
	v_add_f64 v[4:5], v[31:32], v[4:5]
	v_add_f64 v[6:7], v[29:30], v[6:7]
	v_add_f64 v[0:1], v[16:17], v[0:1]
	v_fma_f64 v[16:17], v[139:140], s[14:15], -v[217:218]
	v_add_f64 v[2:3], v[31:32], v[2:3]
	v_add_f64 v[0:1], v[16:17], v[0:1]
	v_fma_f64 v[16:17], v[151:152], s[6:7], -v[221:222]
	v_add_f64 v[0:1], v[16:17], v[0:1]
	v_fma_f64 v[16:17], v[163:164], s[20:21], -v[225:226]
	v_add_f64 v[0:1], v[16:17], v[0:1]
	v_fma_f64 v[16:17], v[133:134], s[10:11], v[215:216]
	v_add_f64 v[6:7], v[16:17], v[6:7]
	v_fma_f64 v[16:17], v[145:146], s[14:15], v[219:220]
	;; [unrolled: 2-line block ×5, first 2 shown]
	v_add_f64 v[6:7], v[16:17], v[6:7]
	v_fma_f64 v[16:17], v[181:182], s[12:13], -v[231:232]
	v_add_f64 v[0:1], v[16:17], v[0:1]
	v_fma_f64 v[16:17], v[121:122], s[14:15], -v[187:188]
	;; [unrolled: 2-line block ×5, first 2 shown]
	v_add_f64 v[2:3], v[16:17], v[2:3]
	v_fma_f64 v[16:17], v[133:134], s[14:15], v[191:192]
	v_add_f64 v[8:9], v[16:17], v[8:9]
	v_fma_f64 v[16:17], v[133:134], s[20:21], v[135:136]
	v_add_f64 v[8:9], v[18:19], v[8:9]
	v_fma_f64 v[18:19], v[121:122], s[20:21], -v[123:124]
	v_add_f64 v[10:11], v[16:17], v[10:11]
	v_fma_f64 v[16:17], v[157:158], s[12:13], v[199:200]
	v_add_f64 v[4:5], v[18:19], v[4:5]
	v_fma_f64 v[18:19], v[157:158], s[14:15], v[159:160]
	v_add_f64 v[8:9], v[16:17], v[8:9]
	v_fma_f64 v[16:17], v[139:140], s[16:17], -v[141:142]
	;; [unrolled: 6-line block ×3, first 2 shown]
	v_add_f64 v[10:11], v[18:19], v[10:11]
	v_fma_f64 v[18:19], v[175:176], s[6:7], v[39:40]
	v_add_f64 v[4:5], v[20:21], v[4:5]
	v_fma_f64 v[20:21], v[175:176], s[10:11], v[41:42]
	v_add_f64 v[10:11], v[16:17], v[10:11]
	v_add_f64 v[8:9], v[18:19], v[8:9]
	v_fma_f64 v[18:19], v[163:164], s[12:13], -v[165:166]
	v_fma_f64 v[16:17], v[181:182], s[6:7], -v[207:208]
	v_add_f64 v[10:11], v[20:21], v[10:11]
	s_clause 0x1
	buffer_load_dword v20, off, s[60:63], 0 offset:120
	buffer_load_dword v21, off, s[60:63], 0 offset:124
	v_add_f64 v[4:5], v[18:19], v[4:5]
	v_add_f64 v[2:3], v[16:17], v[2:3]
	v_fma_f64 v[16:17], v[181:182], s[10:11], -v[43:44]
	v_add_f64 v[4:5], v[16:17], v[4:5]
	s_waitcnt vmcnt(0)
	v_mul_f64 v[18:19], v[6:7], v[20:21]
	v_mul_f64 v[20:21], v[0:1], v[20:21]
	v_fma_f64 v[31:32], v[0:1], v[69:70], -v[18:19]
	v_fma_f64 v[29:30], v[6:7], v[69:70], v[20:21]
	s_clause 0x5
	buffer_load_dword v20, off, s[60:63], 0 offset:112
	buffer_load_dword v21, off, s[60:63], 0 offset:116
	;; [unrolled: 1-line block ×6, first 2 shown]
	v_mul_f64 v[0:1], v[8:9], v[95:96]
	v_mul_f64 v[6:7], v[2:3], v[95:96]
	s_waitcnt vmcnt(4)
	v_mul_f64 v[18:19], v[12:13], v[20:21]
	v_mul_f64 v[20:21], v[14:15], v[20:21]
	s_waitcnt vmcnt(0)
	v_fma_f64 v[45:46], v[2:3], v[37:38], -v[0:1]
	s_clause 0x1
	buffer_load_dword v1, off, s[60:63], 0 offset:80
	buffer_load_dword v2, off, s[60:63], 0 offset:84
	v_mul_f64 v[16:17], v[10:11], v[27:28]
	v_mov_b32_e32 v0, v23
	v_fma_f64 v[43:44], v[8:9], v[37:38], v[6:7]
	v_mul_f64 v[6:7], v[4:5], v[27:28]
	s_waitcnt vmcnt(0)
	v_fma_f64 v[49:50], v[14:15], v[1:2], -v[18:19]
	s_clause 0x1
	buffer_load_dword v18, off, s[60:63], 0 offset:88
	buffer_load_dword v19, off, s[60:63], 0 offset:92
	v_fma_f64 v[47:48], v[12:13], v[1:2], v[20:21]
	v_mov_b32_e32 v1, v25
	v_add_nc_u32_e32 v14, 26, v26
	v_mad_u64_u32 v[2:3], null, s3, v255, v[0:1]
	s_mul_hi_u32 s3, s46, s8
	s_add_i32 s3, s3, s2
	s_mul_i32 s2, s46, s8
	s_lshl_b64 s[2:3], s[2:3], 4
	v_mad_u64_u32 v[0:1], null, s1, v26, v[1:2]
	v_mov_b32_e32 v23, v2
	s_add_u32 s6, s18, s2
	s_addc_u32 s7, s19, s3
	s_lshl_b64 s[2:3], s[4:5], 4
	v_lshlrev_b64 v[8:9], 4, v[22:23]
	v_mov_b32_e32 v25, v0
	s_add_u32 s2, s6, s2
	s_addc_u32 s3, s7, s3
	v_add_co_u32 v15, vcc_lo, s2, v8
	s_waitcnt vmcnt(0)
	v_fma_f64 v[39:40], v[4:5], v[18:19], -v[16:17]
	v_add_nc_u32_e32 v5, 13, v26
	v_mad_u64_u32 v[3:4], null, s0, v14, 0
	v_add_co_ci_u32_e32 v16, vcc_lo, s3, v9, vcc_lo
	v_mad_u64_u32 v[1:2], null, s0, v5, 0
	v_fma_f64 v[37:38], v[10:11], v[18:19], v[6:7]
	v_add_nc_u32_e32 v17, 0x41, v26
	v_add_nc_u32_e32 v18, 0x4e, v26
	v_mov_b32_e32 v0, v2
	v_mad_u64_u32 v[12:13], null, s1, v5, v[0:1]
	v_mov_b32_e32 v0, v4
	v_lshlrev_b64 v[4:5], 4, v[24:25]
	v_mad_u64_u32 v[8:9], null, s1, v14, v[0:1]
	v_mov_b32_e32 v2, v12
	v_add_nc_u32_e32 v12, 39, v26
	v_add_co_u32 v4, vcc_lo, v15, v4
	v_add_co_ci_u32_e32 v5, vcc_lo, v16, v5, vcc_lo
	v_mad_u64_u32 v[6:7], null, s0, v12, 0
	v_lshlrev_b64 v[0:1], 4, v[1:2]
	global_store_dwordx4 v[4:5], v[47:50], off
	v_mov_b32_e32 v4, v8
	v_add_nc_u32_e32 v5, 52, v26
	v_mad_u64_u32 v[13:14], null, s0, v18, 0
	v_mov_b32_e32 v2, v7
	v_lshlrev_b64 v[3:4], 4, v[3:4]
	v_mad_u64_u32 v[8:9], null, s0, v5, 0
	v_add_co_u32 v0, vcc_lo, v15, v0
	v_add_co_ci_u32_e32 v1, vcc_lo, v16, v1, vcc_lo
	v_mad_u64_u32 v[10:11], null, s1, v12, v[2:3]
	v_add_co_u32 v2, vcc_lo, v15, v3
	v_add_co_ci_u32_e32 v3, vcc_lo, v16, v4, vcc_lo
	v_mov_b32_e32 v4, v9
	v_mad_u64_u32 v[11:12], null, s0, v17, 0
	v_mov_b32_e32 v7, v10
	global_store_dwordx4 v[0:1], v[37:40], off
	v_mad_u64_u32 v[4:5], null, s1, v5, v[4:5]
	global_store_dwordx4 v[2:3], v[43:46], off
	v_lshlrev_b64 v[1:2], 4, v[6:7]
	v_mov_b32_e32 v0, v12
	v_add_nc_u32_e32 v10, 0x5b, v26
	v_mov_b32_e32 v9, v4
	v_mad_u64_u32 v[3:4], null, s1, v17, v[0:1]
	v_mov_b32_e32 v0, v14
	v_add_co_u32 v1, vcc_lo, v15, v1
	v_lshlrev_b64 v[4:5], 4, v[8:9]
	v_add_co_ci_u32_e32 v2, vcc_lo, v16, v2, vcc_lo
	v_mad_u64_u32 v[6:7], null, s1, v18, v[0:1]
	v_mad_u64_u32 v[7:8], null, s0, v10, 0
	v_mov_b32_e32 v12, v3
	v_add_co_u32 v3, vcc_lo, v15, v4
	global_store_dwordx4 v[1:2], v[29:32], off
	v_add_co_ci_u32_e32 v4, vcc_lo, v16, v5, vcc_lo
	v_lshlrev_b64 v[1:2], 4, v[11:12]
	v_mov_b32_e32 v0, v8
	v_mov_b32_e32 v14, v6
	global_store_dwordx4 v[3:4], v[103:106], off
	v_add_nc_u32_e32 v9, 0x68, v26
	v_add_nc_u32_e32 v12, 0x82, v26
	v_mad_u64_u32 v[5:6], null, s1, v10, v[0:1]
	v_lshlrev_b64 v[3:4], 4, v[13:14]
	v_add_co_u32 v0, vcc_lo, v15, v1
	v_add_co_ci_u32_e32 v1, vcc_lo, v16, v2, vcc_lo
	v_add_nc_u32_e32 v10, 0x75, v26
	v_add_co_u32 v2, vcc_lo, v15, v3
	v_mov_b32_e32 v8, v5
	v_add_co_ci_u32_e32 v3, vcc_lo, v16, v4, vcc_lo
	v_mad_u64_u32 v[4:5], null, s0, v9, 0
	global_store_dwordx4 v[0:1], v[33:36], off
	v_lshlrev_b64 v[0:1], 4, v[7:8]
	v_mad_u64_u32 v[6:7], null, s0, v12, 0
	global_store_dwordx4 v[2:3], v[51:54], off
	v_mad_u64_u32 v[2:3], null, s0, v10, 0
	v_add_nc_u32_e32 v17, 0x8f, v26
	v_add_co_u32 v0, vcc_lo, v15, v0
	v_mad_u64_u32 v[8:9], null, s1, v9, v[5:6]
	v_add_nc_u32_e32 v18, 0x9c, v26
	v_mad_u64_u32 v[9:10], null, s1, v10, v[3:4]
	v_mov_b32_e32 v3, v7
	v_mad_u64_u32 v[10:11], null, s0, v17, 0
	v_add_co_ci_u32_e32 v1, vcc_lo, v16, v1, vcc_lo
	v_mad_u64_u32 v[12:13], null, s1, v12, v[3:4]
	v_mad_u64_u32 v[13:14], null, s0, v18, 0
	global_store_dwordx4 v[0:1], v[91:94], off
	v_mov_b32_e32 v0, v11
	v_mov_b32_e32 v3, v9
	;; [unrolled: 1-line block ×4, first 2 shown]
	v_mad_u64_u32 v[0:1], null, s1, v17, v[0:1]
	v_lshlrev_b64 v[2:3], 4, v[2:3]
	v_mov_b32_e32 v1, v14
	v_lshlrev_b64 v[4:5], 4, v[4:5]
	v_lshlrev_b64 v[6:7], 4, v[6:7]
	v_mad_u64_u32 v[8:9], null, s1, v18, v[1:2]
	v_add_co_u32 v4, vcc_lo, v15, v4
	v_mov_b32_e32 v11, v0
	v_add_co_ci_u32_e32 v5, vcc_lo, v16, v5, vcc_lo
	v_add_co_u32 v0, vcc_lo, v15, v2
	v_mov_b32_e32 v14, v8
	v_add_co_ci_u32_e32 v1, vcc_lo, v16, v3, vcc_lo
	v_lshlrev_b64 v[2:3], 4, v[10:11]
	v_add_co_u32 v6, vcc_lo, v15, v6
	v_lshlrev_b64 v[8:9], 4, v[13:14]
	s_clause 0x3
	buffer_load_dword v10, off, s[60:63], 0 offset:64
	buffer_load_dword v11, off, s[60:63], 0 offset:68
	;; [unrolled: 1-line block ×4, first 2 shown]
	v_add_co_ci_u32_e32 v7, vcc_lo, v16, v7, vcc_lo
	v_add_co_u32 v2, vcc_lo, v15, v2
	v_add_co_ci_u32_e32 v3, vcc_lo, v16, v3, vcc_lo
	v_add_co_u32 v8, vcc_lo, v15, v8
	v_add_co_ci_u32_e32 v9, vcc_lo, v16, v9, vcc_lo
	s_waitcnt vmcnt(0)
	global_store_dwordx4 v[4:5], v[10:13], off
	s_clause 0x3
	buffer_load_dword v10, off, s[60:63], 0 offset:48
	buffer_load_dword v11, off, s[60:63], 0 offset:52
	buffer_load_dword v12, off, s[60:63], 0 offset:56
	buffer_load_dword v13, off, s[60:63], 0 offset:60
	s_waitcnt vmcnt(0)
	global_store_dwordx4 v[0:1], v[10:13], off
	s_clause 0x3
	buffer_load_dword v10, off, s[60:63], 0 offset:32
	buffer_load_dword v11, off, s[60:63], 0 offset:36
	buffer_load_dword v12, off, s[60:63], 0 offset:40
	buffer_load_dword v13, off, s[60:63], 0 offset:44
	;; [unrolled: 7-line block ×3, first 2 shown]
	s_waitcnt vmcnt(0)
	global_store_dwordx4 v[2:3], v[4:7], off
	s_clause 0x3
	buffer_load_dword v0, off, s[60:63], 0
	buffer_load_dword v1, off, s[60:63], 0 offset:4
	buffer_load_dword v2, off, s[60:63], 0 offset:8
	;; [unrolled: 1-line block ×3, first 2 shown]
	s_waitcnt vmcnt(0)
	global_store_dwordx4 v[8:9], v[0:3], off
.LBB0_19:
	s_endpgm
	.section	.rodata,"a",@progbits
	.p2align	6, 0x0
	.amdhsa_kernel fft_rtc_back_len169_factors_13_13_wgs_156_tpt_13_dp_op_CI_CI_sbcc_twdbase6_3step_dirReg
		.amdhsa_group_segment_fixed_size 0
		.amdhsa_private_segment_fixed_size 132
		.amdhsa_kernarg_size 112
		.amdhsa_user_sgpr_count 6
		.amdhsa_user_sgpr_private_segment_buffer 1
		.amdhsa_user_sgpr_dispatch_ptr 0
		.amdhsa_user_sgpr_queue_ptr 0
		.amdhsa_user_sgpr_kernarg_segment_ptr 1
		.amdhsa_user_sgpr_dispatch_id 0
		.amdhsa_user_sgpr_flat_scratch_init 0
		.amdhsa_user_sgpr_private_segment_size 0
		.amdhsa_wavefront_size32 1
		.amdhsa_uses_dynamic_stack 0
		.amdhsa_system_sgpr_private_segment_wavefront_offset 1
		.amdhsa_system_sgpr_workgroup_id_x 1
		.amdhsa_system_sgpr_workgroup_id_y 0
		.amdhsa_system_sgpr_workgroup_id_z 0
		.amdhsa_system_sgpr_workgroup_info 0
		.amdhsa_system_vgpr_workitem_id 0
		.amdhsa_next_free_vgpr 256
		.amdhsa_next_free_sgpr 64
		.amdhsa_reserve_vcc 1
		.amdhsa_reserve_flat_scratch 0
		.amdhsa_float_round_mode_32 0
		.amdhsa_float_round_mode_16_64 0
		.amdhsa_float_denorm_mode_32 3
		.amdhsa_float_denorm_mode_16_64 3
		.amdhsa_dx10_clamp 1
		.amdhsa_ieee_mode 1
		.amdhsa_fp16_overflow 0
		.amdhsa_workgroup_processor_mode 1
		.amdhsa_memory_ordered 1
		.amdhsa_forward_progress 0
		.amdhsa_shared_vgpr_count 0
		.amdhsa_exception_fp_ieee_invalid_op 0
		.amdhsa_exception_fp_denorm_src 0
		.amdhsa_exception_fp_ieee_div_zero 0
		.amdhsa_exception_fp_ieee_overflow 0
		.amdhsa_exception_fp_ieee_underflow 0
		.amdhsa_exception_fp_ieee_inexact 0
		.amdhsa_exception_int_div_zero 0
	.end_amdhsa_kernel
	.text
.Lfunc_end0:
	.size	fft_rtc_back_len169_factors_13_13_wgs_156_tpt_13_dp_op_CI_CI_sbcc_twdbase6_3step_dirReg, .Lfunc_end0-fft_rtc_back_len169_factors_13_13_wgs_156_tpt_13_dp_op_CI_CI_sbcc_twdbase6_3step_dirReg
                                        ; -- End function
	.section	.AMDGPU.csdata,"",@progbits
; Kernel info:
; codeLenInByte = 14060
; NumSgprs: 66
; NumVgprs: 256
; ScratchSize: 132
; MemoryBound: 1
; FloatMode: 240
; IeeeMode: 1
; LDSByteSize: 0 bytes/workgroup (compile time only)
; SGPRBlocks: 8
; VGPRBlocks: 31
; NumSGPRsForWavesPerEU: 66
; NumVGPRsForWavesPerEU: 256
; Occupancy: 4
; WaveLimiterHint : 1
; COMPUTE_PGM_RSRC2:SCRATCH_EN: 1
; COMPUTE_PGM_RSRC2:USER_SGPR: 6
; COMPUTE_PGM_RSRC2:TRAP_HANDLER: 0
; COMPUTE_PGM_RSRC2:TGID_X_EN: 1
; COMPUTE_PGM_RSRC2:TGID_Y_EN: 0
; COMPUTE_PGM_RSRC2:TGID_Z_EN: 0
; COMPUTE_PGM_RSRC2:TIDIG_COMP_CNT: 0
	.text
	.p2alignl 6, 3214868480
	.fill 48, 4, 3214868480
	.type	__hip_cuid_12d1fda01d2203be,@object ; @__hip_cuid_12d1fda01d2203be
	.section	.bss,"aw",@nobits
	.globl	__hip_cuid_12d1fda01d2203be
__hip_cuid_12d1fda01d2203be:
	.byte	0                               ; 0x0
	.size	__hip_cuid_12d1fda01d2203be, 1

	.ident	"AMD clang version 19.0.0git (https://github.com/RadeonOpenCompute/llvm-project roc-6.4.0 25133 c7fe45cf4b819c5991fe208aaa96edf142730f1d)"
	.section	".note.GNU-stack","",@progbits
	.addrsig
	.addrsig_sym __hip_cuid_12d1fda01d2203be
	.amdgpu_metadata
---
amdhsa.kernels:
  - .args:
      - .actual_access:  read_only
        .address_space:  global
        .offset:         0
        .size:           8
        .value_kind:     global_buffer
      - .address_space:  global
        .offset:         8
        .size:           8
        .value_kind:     global_buffer
      - .offset:         16
        .size:           8
        .value_kind:     by_value
      - .actual_access:  read_only
        .address_space:  global
        .offset:         24
        .size:           8
        .value_kind:     global_buffer
      - .actual_access:  read_only
        .address_space:  global
        .offset:         32
        .size:           8
        .value_kind:     global_buffer
      - .actual_access:  read_only
        .address_space:  global
        .offset:         40
        .size:           8
        .value_kind:     global_buffer
      - .offset:         48
        .size:           8
        .value_kind:     by_value
      - .actual_access:  read_only
        .address_space:  global
        .offset:         56
        .size:           8
        .value_kind:     global_buffer
      - .actual_access:  read_only
        .address_space:  global
        .offset:         64
        .size:           8
        .value_kind:     global_buffer
      - .offset:         72
        .size:           4
        .value_kind:     by_value
      - .actual_access:  read_only
        .address_space:  global
        .offset:         80
        .size:           8
        .value_kind:     global_buffer
      - .actual_access:  read_only
        .address_space:  global
        .offset:         88
        .size:           8
        .value_kind:     global_buffer
      - .actual_access:  read_only
        .address_space:  global
        .offset:         96
        .size:           8
        .value_kind:     global_buffer
      - .actual_access:  write_only
        .address_space:  global
        .offset:         104
        .size:           8
        .value_kind:     global_buffer
    .group_segment_fixed_size: 0
    .kernarg_segment_align: 8
    .kernarg_segment_size: 112
    .language:       OpenCL C
    .language_version:
      - 2
      - 0
    .max_flat_workgroup_size: 156
    .name:           fft_rtc_back_len169_factors_13_13_wgs_156_tpt_13_dp_op_CI_CI_sbcc_twdbase6_3step_dirReg
    .private_segment_fixed_size: 132
    .sgpr_count:     66
    .sgpr_spill_count: 0
    .symbol:         fft_rtc_back_len169_factors_13_13_wgs_156_tpt_13_dp_op_CI_CI_sbcc_twdbase6_3step_dirReg.kd
    .uniform_work_group_size: 1
    .uses_dynamic_stack: false
    .vgpr_count:     256
    .vgpr_spill_count: 32
    .wavefront_size: 32
    .workgroup_processor_mode: 1
amdhsa.target:   amdgcn-amd-amdhsa--gfx1030
amdhsa.version:
  - 1
  - 2
...

	.end_amdgpu_metadata
